;; amdgpu-corpus repo=ROCm/rocFFT kind=compiled arch=gfx1201 opt=O3
	.text
	.amdgcn_target "amdgcn-amd-amdhsa--gfx1201"
	.amdhsa_code_object_version 6
	.protected	fft_rtc_fwd_len546_factors_13_3_7_2_wgs_117_tpt_39_halfLds_half_ip_CI_sbrr_dirReg ; -- Begin function fft_rtc_fwd_len546_factors_13_3_7_2_wgs_117_tpt_39_halfLds_half_ip_CI_sbrr_dirReg
	.globl	fft_rtc_fwd_len546_factors_13_3_7_2_wgs_117_tpt_39_halfLds_half_ip_CI_sbrr_dirReg
	.p2align	8
	.type	fft_rtc_fwd_len546_factors_13_3_7_2_wgs_117_tpt_39_halfLds_half_ip_CI_sbrr_dirReg,@function
fft_rtc_fwd_len546_factors_13_3_7_2_wgs_117_tpt_39_halfLds_half_ip_CI_sbrr_dirReg: ; @fft_rtc_fwd_len546_factors_13_3_7_2_wgs_117_tpt_39_halfLds_half_ip_CI_sbrr_dirReg
; %bb.0:
	s_clause 0x1
	s_load_b64 s[12:13], s[0:1], 0x18
	s_load_b128 s[4:7], s[0:1], 0x0
	v_mul_u32_u24_e32 v1, 0x691, v0
	v_mov_b32_e32 v5, 0
	s_load_b64 s[10:11], s[0:1], 0x50
	s_wait_kmcnt 0x0
	s_load_b64 s[8:9], s[12:13], 0x0
	v_lshrrev_b32_e32 v1, 16, v1
	v_cmp_lt_u64_e64 s2, s[6:7], 2
	s_delay_alu instid0(VALU_DEP_2) | instskip(SKIP_4) | instid1(VALU_DEP_1)
	v_mad_co_u64_u32 v[1:2], null, ttmp9, 3, v[1:2]
	v_mov_b32_e32 v3, 0
	v_mov_b32_e32 v4, 0
	;; [unrolled: 1-line block ×3, first 2 shown]
	s_and_b32 vcc_lo, exec_lo, s2
	v_dual_mov_b32 v10, v2 :: v_dual_mov_b32 v9, v1
	s_cbranch_vccnz .LBB0_8
; %bb.1:
	s_load_b64 s[2:3], s[0:1], 0x10
	v_dual_mov_b32 v3, 0 :: v_dual_mov_b32 v8, v2
	v_dual_mov_b32 v4, 0 :: v_dual_mov_b32 v7, v1
	s_add_nc_u64 s[14:15], s[12:13], 8
	s_mov_b64 s[16:17], 1
	s_wait_kmcnt 0x0
	s_add_nc_u64 s[18:19], s[2:3], 8
	s_mov_b32 s3, 0
.LBB0_2:                                ; =>This Inner Loop Header: Depth=1
	s_load_b64 s[20:21], s[18:19], 0x0
                                        ; implicit-def: $vgpr9_vgpr10
	s_mov_b32 s2, exec_lo
	s_wait_kmcnt 0x0
	v_or_b32_e32 v6, s21, v8
	s_delay_alu instid0(VALU_DEP_1)
	v_cmpx_ne_u64_e32 0, v[5:6]
	s_wait_alu 0xfffe
	s_xor_b32 s22, exec_lo, s2
	s_cbranch_execz .LBB0_4
; %bb.3:                                ;   in Loop: Header=BB0_2 Depth=1
	s_cvt_f32_u32 s2, s20
	s_cvt_f32_u32 s23, s21
	s_sub_nc_u64 s[26:27], 0, s[20:21]
	s_wait_alu 0xfffe
	s_delay_alu instid0(SALU_CYCLE_1) | instskip(SKIP_1) | instid1(SALU_CYCLE_2)
	s_fmamk_f32 s2, s23, 0x4f800000, s2
	s_wait_alu 0xfffe
	v_s_rcp_f32 s2, s2
	s_delay_alu instid0(TRANS32_DEP_1) | instskip(SKIP_1) | instid1(SALU_CYCLE_2)
	s_mul_f32 s2, s2, 0x5f7ffffc
	s_wait_alu 0xfffe
	s_mul_f32 s23, s2, 0x2f800000
	s_wait_alu 0xfffe
	s_delay_alu instid0(SALU_CYCLE_2) | instskip(SKIP_1) | instid1(SALU_CYCLE_2)
	s_trunc_f32 s23, s23
	s_wait_alu 0xfffe
	s_fmamk_f32 s2, s23, 0xcf800000, s2
	s_cvt_u32_f32 s25, s23
	s_wait_alu 0xfffe
	s_delay_alu instid0(SALU_CYCLE_1) | instskip(SKIP_1) | instid1(SALU_CYCLE_2)
	s_cvt_u32_f32 s24, s2
	s_wait_alu 0xfffe
	s_mul_u64 s[28:29], s[26:27], s[24:25]
	s_wait_alu 0xfffe
	s_mul_hi_u32 s31, s24, s29
	s_mul_i32 s30, s24, s29
	s_mul_hi_u32 s2, s24, s28
	s_mul_i32 s33, s25, s28
	s_wait_alu 0xfffe
	s_add_nc_u64 s[30:31], s[2:3], s[30:31]
	s_mul_hi_u32 s23, s25, s28
	s_mul_hi_u32 s34, s25, s29
	s_add_co_u32 s2, s30, s33
	s_wait_alu 0xfffe
	s_add_co_ci_u32 s2, s31, s23
	s_mul_i32 s28, s25, s29
	s_add_co_ci_u32 s29, s34, 0
	s_wait_alu 0xfffe
	s_add_nc_u64 s[28:29], s[2:3], s[28:29]
	s_wait_alu 0xfffe
	v_add_co_u32 v2, s2, s24, s28
	s_delay_alu instid0(VALU_DEP_1) | instskip(SKIP_1) | instid1(VALU_DEP_1)
	s_cmp_lg_u32 s2, 0
	s_add_co_ci_u32 s25, s25, s29
	v_readfirstlane_b32 s24, v2
	s_wait_alu 0xfffe
	s_delay_alu instid0(VALU_DEP_1)
	s_mul_u64 s[26:27], s[26:27], s[24:25]
	s_wait_alu 0xfffe
	s_mul_hi_u32 s29, s24, s27
	s_mul_i32 s28, s24, s27
	s_mul_hi_u32 s2, s24, s26
	s_mul_i32 s30, s25, s26
	s_wait_alu 0xfffe
	s_add_nc_u64 s[28:29], s[2:3], s[28:29]
	s_mul_hi_u32 s23, s25, s26
	s_mul_hi_u32 s24, s25, s27
	s_wait_alu 0xfffe
	s_add_co_u32 s2, s28, s30
	s_add_co_ci_u32 s2, s29, s23
	s_mul_i32 s26, s25, s27
	s_add_co_ci_u32 s27, s24, 0
	s_wait_alu 0xfffe
	s_add_nc_u64 s[26:27], s[2:3], s[26:27]
	s_wait_alu 0xfffe
	v_add_co_u32 v2, s2, v2, s26
	s_delay_alu instid0(VALU_DEP_1) | instskip(SKIP_1) | instid1(VALU_DEP_1)
	s_cmp_lg_u32 s2, 0
	s_add_co_ci_u32 s2, s25, s27
	v_mul_hi_u32 v6, v7, v2
	s_wait_alu 0xfffe
	v_mad_co_u64_u32 v[9:10], null, v7, s2, 0
	v_mad_co_u64_u32 v[11:12], null, v8, v2, 0
	;; [unrolled: 1-line block ×3, first 2 shown]
	s_delay_alu instid0(VALU_DEP_3) | instskip(SKIP_1) | instid1(VALU_DEP_4)
	v_add_co_u32 v2, vcc_lo, v6, v9
	s_wait_alu 0xfffd
	v_add_co_ci_u32_e32 v6, vcc_lo, 0, v10, vcc_lo
	s_delay_alu instid0(VALU_DEP_2) | instskip(SKIP_1) | instid1(VALU_DEP_2)
	v_add_co_u32 v2, vcc_lo, v2, v11
	s_wait_alu 0xfffd
	v_add_co_ci_u32_e32 v2, vcc_lo, v6, v12, vcc_lo
	s_wait_alu 0xfffd
	v_add_co_ci_u32_e32 v6, vcc_lo, 0, v14, vcc_lo
	s_delay_alu instid0(VALU_DEP_2) | instskip(SKIP_1) | instid1(VALU_DEP_2)
	v_add_co_u32 v2, vcc_lo, v2, v13
	s_wait_alu 0xfffd
	v_add_co_ci_u32_e32 v6, vcc_lo, 0, v6, vcc_lo
	s_delay_alu instid0(VALU_DEP_2) | instskip(SKIP_1) | instid1(VALU_DEP_3)
	v_mul_lo_u32 v11, s21, v2
	v_mad_co_u64_u32 v[9:10], null, s20, v2, 0
	v_mul_lo_u32 v12, s20, v6
	s_delay_alu instid0(VALU_DEP_2) | instskip(NEXT) | instid1(VALU_DEP_2)
	v_sub_co_u32 v9, vcc_lo, v7, v9
	v_add3_u32 v10, v10, v12, v11
	s_delay_alu instid0(VALU_DEP_1) | instskip(SKIP_1) | instid1(VALU_DEP_1)
	v_sub_nc_u32_e32 v11, v8, v10
	s_wait_alu 0xfffd
	v_subrev_co_ci_u32_e64 v11, s2, s21, v11, vcc_lo
	v_add_co_u32 v12, s2, v2, 2
	s_wait_alu 0xf1ff
	v_add_co_ci_u32_e64 v13, s2, 0, v6, s2
	v_sub_co_u32 v14, s2, v9, s20
	v_sub_co_ci_u32_e32 v10, vcc_lo, v8, v10, vcc_lo
	s_wait_alu 0xf1ff
	v_subrev_co_ci_u32_e64 v11, s2, 0, v11, s2
	s_delay_alu instid0(VALU_DEP_3) | instskip(NEXT) | instid1(VALU_DEP_3)
	v_cmp_le_u32_e32 vcc_lo, s20, v14
	v_cmp_eq_u32_e64 s2, s21, v10
	s_wait_alu 0xfffd
	v_cndmask_b32_e64 v14, 0, -1, vcc_lo
	v_cmp_le_u32_e32 vcc_lo, s21, v11
	s_wait_alu 0xfffd
	v_cndmask_b32_e64 v15, 0, -1, vcc_lo
	v_cmp_le_u32_e32 vcc_lo, s20, v9
	;; [unrolled: 3-line block ×3, first 2 shown]
	s_wait_alu 0xfffd
	v_cndmask_b32_e64 v16, 0, -1, vcc_lo
	v_cmp_eq_u32_e32 vcc_lo, s21, v11
	s_wait_alu 0xf1ff
	s_delay_alu instid0(VALU_DEP_2)
	v_cndmask_b32_e64 v9, v16, v9, s2
	s_wait_alu 0xfffd
	v_cndmask_b32_e32 v11, v15, v14, vcc_lo
	v_add_co_u32 v14, vcc_lo, v2, 1
	s_wait_alu 0xfffd
	v_add_co_ci_u32_e32 v15, vcc_lo, 0, v6, vcc_lo
	s_delay_alu instid0(VALU_DEP_3) | instskip(SKIP_1) | instid1(VALU_DEP_2)
	v_cmp_ne_u32_e32 vcc_lo, 0, v11
	s_wait_alu 0xfffd
	v_dual_cndmask_b32 v10, v15, v13 :: v_dual_cndmask_b32 v11, v14, v12
	v_cmp_ne_u32_e32 vcc_lo, 0, v9
	s_wait_alu 0xfffd
	s_delay_alu instid0(VALU_DEP_2) | instskip(NEXT) | instid1(VALU_DEP_3)
	v_cndmask_b32_e32 v10, v6, v10, vcc_lo
	v_cndmask_b32_e32 v9, v2, v11, vcc_lo
.LBB0_4:                                ;   in Loop: Header=BB0_2 Depth=1
	s_wait_alu 0xfffe
	s_and_not1_saveexec_b32 s2, s22
	s_cbranch_execz .LBB0_6
; %bb.5:                                ;   in Loop: Header=BB0_2 Depth=1
	v_cvt_f32_u32_e32 v2, s20
	s_sub_co_i32 s22, 0, s20
	s_delay_alu instid0(VALU_DEP_1) | instskip(NEXT) | instid1(TRANS32_DEP_1)
	v_rcp_iflag_f32_e32 v2, v2
	v_mul_f32_e32 v2, 0x4f7ffffe, v2
	s_delay_alu instid0(VALU_DEP_1) | instskip(SKIP_1) | instid1(VALU_DEP_1)
	v_cvt_u32_f32_e32 v2, v2
	s_wait_alu 0xfffe
	v_mul_lo_u32 v6, s22, v2
	s_delay_alu instid0(VALU_DEP_1) | instskip(NEXT) | instid1(VALU_DEP_1)
	v_mul_hi_u32 v6, v2, v6
	v_add_nc_u32_e32 v2, v2, v6
	s_delay_alu instid0(VALU_DEP_1) | instskip(NEXT) | instid1(VALU_DEP_1)
	v_mul_hi_u32 v2, v7, v2
	v_mul_lo_u32 v6, v2, s20
	v_add_nc_u32_e32 v9, 1, v2
	s_delay_alu instid0(VALU_DEP_2) | instskip(NEXT) | instid1(VALU_DEP_1)
	v_sub_nc_u32_e32 v6, v7, v6
	v_subrev_nc_u32_e32 v10, s20, v6
	v_cmp_le_u32_e32 vcc_lo, s20, v6
	s_wait_alu 0xfffd
	s_delay_alu instid0(VALU_DEP_2) | instskip(SKIP_2) | instid1(VALU_DEP_3)
	v_cndmask_b32_e32 v6, v6, v10, vcc_lo
	v_mov_b32_e32 v10, v5
	v_cndmask_b32_e32 v2, v2, v9, vcc_lo
	v_cmp_le_u32_e32 vcc_lo, s20, v6
	s_delay_alu instid0(VALU_DEP_2) | instskip(SKIP_1) | instid1(VALU_DEP_1)
	v_add_nc_u32_e32 v9, 1, v2
	s_wait_alu 0xfffd
	v_cndmask_b32_e32 v9, v2, v9, vcc_lo
.LBB0_6:                                ;   in Loop: Header=BB0_2 Depth=1
	s_wait_alu 0xfffe
	s_or_b32 exec_lo, exec_lo, s2
	s_load_b64 s[22:23], s[14:15], 0x0
	v_mul_lo_u32 v2, v10, s20
	v_mul_lo_u32 v6, v9, s21
	v_mad_co_u64_u32 v[11:12], null, v9, s20, 0
	s_add_nc_u64 s[16:17], s[16:17], 1
	s_add_nc_u64 s[14:15], s[14:15], 8
	s_wait_alu 0xfffe
	v_cmp_ge_u64_e64 s2, s[16:17], s[6:7]
	s_add_nc_u64 s[18:19], s[18:19], 8
	s_delay_alu instid0(VALU_DEP_2) | instskip(NEXT) | instid1(VALU_DEP_3)
	v_add3_u32 v2, v12, v6, v2
	v_sub_co_u32 v6, vcc_lo, v7, v11
	s_wait_alu 0xfffd
	s_delay_alu instid0(VALU_DEP_2) | instskip(SKIP_3) | instid1(VALU_DEP_2)
	v_sub_co_ci_u32_e32 v2, vcc_lo, v8, v2, vcc_lo
	s_and_b32 vcc_lo, exec_lo, s2
	s_wait_kmcnt 0x0
	v_mul_lo_u32 v7, s23, v6
	v_mul_lo_u32 v2, s22, v2
	v_mad_co_u64_u32 v[3:4], null, s22, v6, v[3:4]
	s_delay_alu instid0(VALU_DEP_1)
	v_add3_u32 v4, v7, v4, v2
	s_wait_alu 0xfffe
	s_cbranch_vccnz .LBB0_8
; %bb.7:                                ;   in Loop: Header=BB0_2 Depth=1
	v_dual_mov_b32 v7, v9 :: v_dual_mov_b32 v8, v10
	s_branch .LBB0_2
.LBB0_8:
	s_lshl_b64 s[2:3], s[6:7], 3
	v_mul_hi_u32 v5, 0x6906907, v0
	s_wait_alu 0xfffe
	s_add_nc_u64 s[2:3], s[12:13], s[2:3]
	v_mov_b32_e32 v13, 0
	s_load_b64 s[2:3], s[2:3], 0x0
	s_load_b64 s[0:1], s[0:1], 0x20
                                        ; implicit-def: $vgpr47
                                        ; implicit-def: $vgpr8
                                        ; implicit-def: $vgpr62
                                        ; implicit-def: $vgpr63
                                        ; implicit-def: $vgpr61
                                        ; implicit-def: $vgpr60
                                        ; implicit-def: $vgpr58
                                        ; implicit-def: $vgpr54
                                        ; implicit-def: $vgpr11
                                        ; implicit-def: $vgpr53
                                        ; implicit-def: $vgpr12
                                        ; implicit-def: $vgpr52
                                        ; implicit-def: $vgpr14
                                        ; implicit-def: $vgpr51
                                        ; implicit-def: $vgpr15
                                        ; implicit-def: $vgpr50
                                        ; implicit-def: $vgpr16
                                        ; implicit-def: $vgpr49
                                        ; implicit-def: $vgpr17
                                        ; implicit-def: $vgpr48
                                        ; implicit-def: $vgpr18
                                        ; implicit-def: $vgpr44
                                        ; implicit-def: $vgpr33
                                        ; implicit-def: $vgpr43
                                        ; implicit-def: $vgpr26
                                        ; implicit-def: $vgpr41
                                        ; implicit-def: $vgpr25
                                        ; implicit-def: $vgpr39
                                        ; implicit-def: $vgpr24
                                        ; implicit-def: $vgpr36
                                        ; implicit-def: $vgpr22
                                        ; implicit-def: $vgpr30
                                        ; implicit-def: $vgpr20
                                        ; implicit-def: $vgpr27
                                        ; implicit-def: $vgpr45
                                        ; implicit-def: $vgpr29
                                        ; implicit-def: $vgpr42
                                        ; implicit-def: $vgpr35
                                        ; implicit-def: $vgpr40
                                        ; implicit-def: $vgpr38
                                        ; implicit-def: $vgpr34
                                        ; implicit-def: $vgpr37
                                        ; implicit-def: $vgpr28
                                        ; implicit-def: $vgpr32
                                        ; implicit-def: $vgpr21
	s_wait_kmcnt 0x0
	v_mul_lo_u32 v6, s2, v10
	v_mul_lo_u32 v7, s3, v9
	v_mad_co_u64_u32 v[2:3], null, s2, v9, v[3:4]
	v_mul_u32_u24_e32 v4, 39, v5
	v_cmp_gt_u64_e32 vcc_lo, s[0:1], v[9:10]
	v_mov_b32_e32 v9, 0
                                        ; implicit-def: $vgpr5
                                        ; implicit-def: $vgpr10
	s_delay_alu instid0(VALU_DEP_3) | instskip(SKIP_1) | instid1(VALU_DEP_1)
	v_sub_nc_u32_e32 v4, v0, v4
	v_add3_u32 v3, v7, v3, v6
                                        ; implicit-def: $vgpr0
	v_lshlrev_b64_e32 v[6:7], 2, v[2:3]
                                        ; implicit-def: $vgpr2
                                        ; implicit-def: $vgpr3
	s_and_saveexec_b32 s1, vcc_lo
	s_cbranch_execz .LBB0_12
; %bb.9:
	v_mad_co_u64_u32 v[2:3], null, s8, v4, 0
	v_add_nc_u32_e32 v5, 42, v4
	s_delay_alu instid0(VALU_DEP_3)
	v_add_co_u32 v19, s0, s10, v6
	s_wait_alu 0xf1ff
	v_add_co_ci_u32_e64 v23, s0, s11, v7, s0
	v_add_nc_u32_e32 v22, 0x1a4, v4
	v_mov_b32_e32 v0, v3
	v_mad_co_u64_u32 v[8:9], null, s8, v5, 0
	v_add_nc_u32_e32 v15, 0x54, v4
                                        ; implicit-def: $vgpr42
                                        ; implicit-def: $vgpr45
                                        ; implicit-def: $vgpr41
                                        ; implicit-def: $vgpr43
                                        ; implicit-def: $vgpr44
	s_delay_alu instid0(VALU_DEP_3) | instskip(NEXT) | instid1(VALU_DEP_3)
	v_mad_co_u64_u32 v[10:11], null, s9, v4, v[0:1]
	v_mov_b32_e32 v0, v9
	s_delay_alu instid0(VALU_DEP_3) | instskip(NEXT) | instid1(VALU_DEP_3)
	v_mad_co_u64_u32 v[11:12], null, s8, v15, 0
	v_dual_mov_b32 v3, v10 :: v_dual_add_nc_u32 v10, 0xa8, v4
	s_delay_alu instid0(VALU_DEP_3) | instskip(NEXT) | instid1(VALU_DEP_3)
	v_mad_co_u64_u32 v[13:14], null, s9, v5, v[0:1]
	v_dual_mov_b32 v0, v12 :: v_dual_add_nc_u32 v5, 0x7e, v4
	s_delay_alu instid0(VALU_DEP_3) | instskip(NEXT) | instid1(VALU_DEP_3)
	v_lshlrev_b64_e32 v[2:3], 2, v[2:3]
	v_mov_b32_e32 v9, v13
	s_delay_alu instid0(VALU_DEP_3) | instskip(NEXT) | instid1(VALU_DEP_4)
	v_mad_co_u64_u32 v[13:14], null, s8, v5, 0
	v_mad_co_u64_u32 v[15:16], null, s9, v15, v[0:1]
	;; [unrolled: 1-line block ×3, first 2 shown]
	v_add_co_u32 v2, s0, v19, v2
	s_delay_alu instid0(VALU_DEP_4)
	v_mov_b32_e32 v0, v14
	v_lshlrev_b64_e32 v[8:9], 2, v[8:9]
	v_mov_b32_e32 v12, v15
	s_wait_alu 0xf1ff
	v_add_co_ci_u32_e64 v3, s0, v23, v3, s0
	v_mad_co_u64_u32 v[14:15], null, s9, v5, v[0:1]
	v_dual_mov_b32 v0, v17 :: v_dual_add_nc_u32 v5, 0xd2, v4
	v_add_nc_u32_e32 v15, 0xfc, v4
	v_add_co_u32 v20, s0, v19, v8
	s_wait_alu 0xf1ff
	v_add_co_ci_u32_e64 v21, s0, v23, v9, s0
	v_lshlrev_b64_e32 v[8:9], 2, v[11:12]
	v_mad_co_u64_u32 v[10:11], null, s9, v10, v[0:1]
	v_mad_co_u64_u32 v[11:12], null, s8, v5, 0
	s_delay_alu instid0(VALU_DEP_3) | instskip(SKIP_1) | instid1(VALU_DEP_4)
	v_add_co_u32 v24, s0, v19, v8
	s_wait_alu 0xf1ff
	v_add_co_ci_u32_e64 v25, s0, v23, v9, s0
	s_delay_alu instid0(VALU_DEP_4) | instskip(SKIP_2) | instid1(VALU_DEP_3)
	v_dual_mov_b32 v17, v10 :: v_dual_add_nc_u32 v10, 0x126, v4
	v_lshlrev_b64_e32 v[8:9], 2, v[13:14]
	v_mad_co_u64_u32 v[13:14], null, s8, v15, 0
	v_mad_co_u64_u32 v[26:27], null, s8, v10, 0
	v_mov_b32_e32 v0, v12
	s_delay_alu instid0(VALU_DEP_1) | instskip(NEXT) | instid1(VALU_DEP_3)
	v_mad_co_u64_u32 v[28:29], null, s9, v5, v[0:1]
	v_dual_mov_b32 v5, v27 :: v_dual_mov_b32 v0, v14
	v_add_co_u32 v29, s0, v19, v8
	s_wait_alu 0xf1ff
	v_add_co_ci_u32_e64 v30, s0, v23, v9, s0
	s_delay_alu instid0(VALU_DEP_3) | instskip(SKIP_3) | instid1(VALU_DEP_3)
	v_mad_co_u64_u32 v[14:15], null, s9, v15, v[0:1]
	v_lshlrev_b64_e32 v[8:9], 2, v[16:17]
	v_mad_co_u64_u32 v[15:16], null, s9, v10, v[5:6]
	v_dual_mov_b32 v12, v28 :: v_dual_add_nc_u32 v5, 0x150, v4
	v_add_co_u32 v16, s0, v19, v8
	s_delay_alu instid0(VALU_DEP_2) | instskip(NEXT) | instid1(VALU_DEP_4)
	v_mad_co_u64_u32 v[31:32], null, s8, v5, 0
	v_mov_b32_e32 v27, v15
	s_wait_alu 0xf1ff
	v_add_co_ci_u32_e64 v17, s0, v23, v9, s0
	v_lshlrev_b64_e32 v[8:9], 2, v[11:12]
	s_delay_alu instid0(VALU_DEP_4) | instskip(NEXT) | instid1(VALU_DEP_2)
	v_mov_b32_e32 v0, v32
	v_add_co_u32 v10, s0, v19, v8
	s_wait_alu 0xf1ff
	s_delay_alu instid0(VALU_DEP_3)
	v_add_co_ci_u32_e64 v11, s0, v23, v9, s0
	v_lshlrev_b64_e32 v[8:9], 2, v[13:14]
	v_lshlrev_b64_e32 v[12:13], 2, v[26:27]
	v_mad_co_u64_u32 v[26:27], null, s9, v5, v[0:1]
	v_mad_co_u64_u32 v[27:28], null, s8, v22, 0
	v_add_nc_u32_e32 v18, 0x17a, v4
	v_add_co_u32 v33, s0, v19, v8
	s_wait_alu 0xf1ff
	v_add_co_ci_u32_e64 v34, s0, v23, v9, s0
	s_delay_alu instid0(VALU_DEP_4)
	v_dual_mov_b32 v32, v26 :: v_dual_mov_b32 v5, v28
	v_mad_co_u64_u32 v[14:15], null, s8, v18, 0
	v_add_nc_u32_e32 v26, 0x1f8, v4
	v_add_co_u32 v12, s0, v19, v12
	s_wait_alu 0xf1ff
	v_add_co_ci_u32_e64 v13, s0, v23, v13, s0
	s_delay_alu instid0(VALU_DEP_3) | instskip(SKIP_1) | instid1(VALU_DEP_1)
	v_mad_co_u64_u32 v[39:40], null, s8, v26, 0
	v_mov_b32_e32 v0, v15
	v_mad_co_u64_u32 v[35:36], null, s9, v18, v[0:1]
	s_delay_alu instid0(VALU_DEP_1)
	v_dual_mov_b32 v15, v35 :: v_dual_add_nc_u32 v18, 0x1ce, v4
	v_mad_co_u64_u32 v[36:37], null, s9, v22, v[5:6]
	s_clause 0x7
	global_load_b32 v8, v[2:3], off
	global_load_b32 v0, v[20:21], off
	;; [unrolled: 1-line block ×8, first 2 shown]
	v_mad_co_u64_u32 v[37:38], null, s8, v18, 0
	v_lshlrev_b64_e32 v[13:14], 2, v[14:15]
                                        ; implicit-def: $vgpr34
                                        ; implicit-def: $vgpr35
                                        ; implicit-def: $vgpr30
                                        ; implicit-def: $vgpr33
	v_mov_b32_e32 v28, v36
                                        ; implicit-def: $vgpr36
	s_delay_alu instid0(VALU_DEP_3) | instskip(NEXT) | instid1(VALU_DEP_2)
	v_mov_b32_e32 v9, v38
	v_lshlrev_b64_e32 v[24:25], 2, v[27:28]
	s_wait_loadcnt 0x2
	s_delay_alu instid0(VALU_DEP_2) | instskip(SKIP_1) | instid1(VALU_DEP_1)
	v_mad_co_u64_u32 v[20:21], null, s9, v18, v[9:10]
	v_mov_b32_e32 v9, v40
	v_mad_co_u64_u32 v[21:22], null, s9, v26, v[9:10]
	v_mov_b32_e32 v9, 0
	v_lshlrev_b64_e32 v[16:17], 2, v[31:32]
	v_mov_b32_e32 v38, v20
                                        ; implicit-def: $vgpr32
                                        ; implicit-def: $vgpr22
	s_delay_alu instid0(VALU_DEP_4) | instskip(NEXT) | instid1(VALU_DEP_3)
	v_mov_b32_e32 v40, v21
	v_add_co_u32 v16, s0, v19, v16
	s_wait_alu 0xf1ff
	s_delay_alu instid0(VALU_DEP_4)
	v_add_co_ci_u32_e64 v17, s0, v23, v17, s0
	v_add_co_u32 v26, s0, v19, v13
	s_wait_alu 0xf1ff
	v_add_co_ci_u32_e64 v27, s0, v23, v14, s0
	v_lshlrev_b64_e32 v[13:14], 2, v[37:38]
	v_add_co_u32 v20, s0, v19, v24
	s_wait_alu 0xf1ff
	v_add_co_ci_u32_e64 v21, s0, v23, v25, s0
	v_lshlrev_b64_e32 v[24:25], 2, v[39:40]
	s_delay_alu instid0(VALU_DEP_4) | instskip(SKIP_3) | instid1(VALU_DEP_4)
	v_add_co_u32 v28, s0, v19, v13
	v_mov_b32_e32 v13, 0
	s_wait_alu 0xf1ff
	v_add_co_ci_u32_e64 v29, s0, v23, v14, s0
	v_add_co_u32 v24, s0, v19, v24
	s_wait_alu 0xf1ff
	v_add_co_ci_u32_e64 v25, s0, v23, v25, s0
	s_clause 0x4
	global_load_b32 v14, v[16:17], off
	global_load_b32 v15, v[26:27], off
	;; [unrolled: 1-line block ×5, first 2 shown]
	v_cmp_gt_u32_e64 s0, 3, v4
                                        ; implicit-def: $vgpr21
                                        ; implicit-def: $vgpr28
                                        ; implicit-def: $vgpr37
                                        ; implicit-def: $vgpr38
                                        ; implicit-def: $vgpr40
                                        ; implicit-def: $vgpr29
                                        ; implicit-def: $vgpr27
                                        ; implicit-def: $vgpr20
                                        ; implicit-def: $vgpr24
                                        ; implicit-def: $vgpr39
                                        ; implicit-def: $vgpr25
                                        ; implicit-def: $vgpr26
	s_delay_alu instid0(VALU_DEP_1)
	s_and_saveexec_b32 s2, s0
	s_cbranch_execz .LBB0_11
; %bb.10:
	v_add_nc_u32_e32 v22, 39, v4
	v_add_nc_u32_e32 v30, 0x51, v4
	;; [unrolled: 1-line block ×5, first 2 shown]
	v_mad_co_u64_u32 v[20:21], null, s8, v22, 0
	v_mad_co_u64_u32 v[24:25], null, s8, v30, 0
	;; [unrolled: 1-line block ×4, first 2 shown]
	s_delay_alu instid0(VALU_DEP_4) | instskip(SKIP_2) | instid1(VALU_DEP_3)
	v_mov_b32_e32 v9, v21
	v_mad_co_u64_u32 v[36:37], null, s8, v41, 0
	v_dual_mov_b32 v13, v25 :: v_dual_add_nc_u32 v40, 0x123, v4
	v_mad_co_u64_u32 v[21:22], null, s9, v22, v[9:10]
	v_mov_b32_e32 v9, v27
	s_wait_loadcnt 0x4
	s_delay_alu instid0(VALU_DEP_3) | instskip(SKIP_4) | instid1(VALU_DEP_4)
	v_mad_co_u64_u32 v[30:31], null, s9, v30, v[13:14]
	v_add_nc_u32_e32 v13, 0xcf, v4
	v_add_nc_u32_e32 v22, 0xf9, v4
	v_mad_co_u64_u32 v[31:32], null, s9, v32, v[9:10]
	v_mov_b32_e32 v9, v29
	v_mad_co_u64_u32 v[32:33], null, s8, v13, 0
	v_mov_b32_e32 v25, v30
	v_lshlrev_b64_e32 v[20:21], 2, v[20:21]
	s_delay_alu instid0(VALU_DEP_4)
	v_mad_co_u64_u32 v[29:30], null, s9, v34, v[9:10]
	v_mov_b32_e32 v27, v31
	v_mad_co_u64_u32 v[34:35], null, s8, v22, 0
	v_mov_b32_e32 v9, v33
	v_lshlrev_b64_e32 v[24:25], 2, v[24:25]
	v_add_co_u32 v20, s0, v19, v20
	v_lshlrev_b64_e32 v[26:27], 2, v[26:27]
	s_delay_alu instid0(VALU_DEP_4) | instskip(SKIP_4) | instid1(VALU_DEP_4)
	v_mad_co_u64_u32 v[30:31], null, s9, v13, v[9:10]
	v_dual_mov_b32 v9, v35 :: v_dual_add_nc_u32 v50, 0x21f, v4
	s_wait_alu 0xf1ff
	v_add_co_ci_u32_e64 v21, s0, v23, v21, s0
	v_add_co_u32 v24, s0, v19, v24
	v_dual_mov_b32 v33, v30 :: v_dual_add_nc_u32 v46, 0x1cb, v4
	v_mad_co_u64_u32 v[30:31], null, s8, v40, 0
	v_mad_co_u64_u32 v[38:39], null, s9, v22, v[9:10]
	v_lshlrev_b64_e32 v[28:29], 2, v[28:29]
	v_mov_b32_e32 v13, v37
	s_wait_alu 0xf1ff
	v_add_co_ci_u32_e64 v25, s0, v23, v25, s0
	v_mov_b32_e32 v9, v31
	v_add_co_u32 v26, s0, v19, v26
	v_lshlrev_b64_e32 v[31:32], 2, v[32:33]
	s_wait_alu 0xf1ff
	v_add_co_ci_u32_e64 v27, s0, v23, v27, s0
	v_mov_b32_e32 v35, v38
	v_mad_co_u64_u32 v[37:38], null, s9, v40, v[9:10]
	v_add_co_u32 v28, s0, v19, v28
	v_mad_co_u64_u32 v[38:39], null, s9, v41, v[13:14]
	v_add_nc_u32_e32 v13, 0x177, v4
	s_wait_alu 0xf1ff
	v_add_co_ci_u32_e64 v29, s0, v23, v29, s0
	v_add_co_u32 v39, s0, v19, v31
	s_wait_alu 0xf1ff
	v_add_co_ci_u32_e64 v40, s0, v23, v32, s0
	v_lshlrev_b64_e32 v[32:33], 2, v[34:35]
	v_mad_co_u64_u32 v[34:35], null, s8, v13, 0
	v_mov_b32_e32 v31, v37
	v_dual_mov_b32 v37, v38 :: v_dual_add_nc_u32 v22, 0x1a1, v4
	s_delay_alu instid0(VALU_DEP_4)
	v_add_co_u32 v41, s0, v19, v32
	s_wait_alu 0xf1ff
	v_add_co_ci_u32_e64 v42, s0, v23, v33, s0
	v_mov_b32_e32 v9, v35
	v_lshlrev_b64_e32 v[32:33], 2, v[36:37]
	v_mad_co_u64_u32 v[36:37], null, s8, v22, 0
	v_lshlrev_b64_e32 v[30:31], 2, v[30:31]
	s_delay_alu instid0(VALU_DEP_4) | instskip(SKIP_2) | instid1(VALU_DEP_4)
	v_mad_co_u64_u32 v[43:44], null, s9, v13, v[9:10]
	v_mad_co_u64_u32 v[44:45], null, s8, v46, 0
	;; [unrolled: 1-line block ×3, first 2 shown]
	v_add_co_u32 v30, s0, v19, v30
	s_delay_alu instid0(VALU_DEP_4)
	v_mov_b32_e32 v35, v43
	v_add_nc_u32_e32 v43, 0x1f5, v4
	v_mov_b32_e32 v13, v45
	v_mov_b32_e32 v9, v37
	s_wait_alu 0xf1ff
	v_add_co_ci_u32_e64 v31, s0, v23, v31, s0
	v_add_co_u32 v37, s0, v19, v32
	v_mad_co_u64_u32 v[45:46], null, s9, v46, v[13:14]
	v_mad_co_u64_u32 v[46:47], null, s8, v43, 0
	s_wait_alu 0xf1ff
	v_add_co_ci_u32_e64 v38, s0, v23, v33, s0
	v_mad_co_u64_u32 v[32:33], null, s9, v22, v[9:10]
	s_clause 0x7
	global_load_b32 v9, v[20:21], off
	global_load_b32 v33, v[24:25], off
	;; [unrolled: 1-line block ×8, first 2 shown]
	v_lshlrev_b64_e32 v[27:28], 2, v[34:35]
	v_mov_b32_e32 v13, v47
	v_mov_b32_e32 v37, v32
	s_delay_alu instid0(VALU_DEP_2) | instskip(SKIP_2) | instid1(VALU_DEP_4)
	v_mad_co_u64_u32 v[29:30], null, s9, v43, v[13:14]
	v_mov_b32_e32 v13, v49
	v_add_co_u32 v27, s0, v19, v27
	v_lshlrev_b64_e32 v[30:31], 2, v[36:37]
	s_wait_alu 0xf1ff
	v_add_co_ci_u32_e64 v28, s0, v23, v28, s0
	v_mad_co_u64_u32 v[34:35], null, s9, v50, v[13:14]
	v_mov_b32_e32 v47, v29
	v_lshlrev_b64_e32 v[35:36], 2, v[44:45]
	v_add_co_u32 v29, s0, v19, v30
	s_wait_alu 0xf1ff
	v_add_co_ci_u32_e64 v30, s0, v23, v31, s0
	v_mov_b32_e32 v49, v34
	v_lshlrev_b64_e32 v[31:32], 2, v[46:47]
	v_add_co_u32 v35, s0, v19, v35
	s_wait_alu 0xf1ff
	v_add_co_ci_u32_e64 v36, s0, v23, v36, s0
	v_lshlrev_b64_e32 v[37:38], 2, v[48:49]
	s_delay_alu instid0(VALU_DEP_4) | instskip(SKIP_2) | instid1(VALU_DEP_3)
	v_add_co_u32 v31, s0, v19, v31
	s_wait_alu 0xf1ff
	v_add_co_ci_u32_e64 v32, s0, v23, v32, s0
	v_add_co_u32 v37, s0, v19, v37
	s_wait_alu 0xf1ff
	v_add_co_ci_u32_e64 v38, s0, v23, v38, s0
	s_clause 0x4
	global_load_b32 v28, v[27:28], off
	global_load_b32 v34, v[29:30], off
	;; [unrolled: 1-line block ×5, first 2 shown]
	s_wait_loadcnt 0xc
	v_lshrrev_b32_e32 v13, 16, v9
	s_wait_loadcnt 0xb
	v_lshrrev_b32_e32 v44, 16, v33
	;; [unrolled: 2-line block ×13, first 2 shown]
.LBB0_11:
	s_wait_alu 0xfffe
	s_or_b32 exec_lo, exec_lo, s2
	v_lshrrev_b32_e32 v47, 16, v8
	v_lshrrev_b32_e32 v62, 16, v0
	;; [unrolled: 1-line block ×6, first 2 shown]
	s_wait_loadcnt 0x6
	v_lshrrev_b32_e32 v54, 16, v11
	s_wait_loadcnt 0x5
	v_lshrrev_b32_e32 v53, 16, v12
	;; [unrolled: 2-line block ×7, first 2 shown]
.LBB0_12:
	s_wait_alu 0xfffe
	s_or_b32 exec_lo, exec_lo, s1
	v_sub_f16_e32 v46, v44, v27
	v_mul_hi_u32 v19, 0xaaaaaaab, v1
	v_add_f16_e32 v23, v0, v18
	v_add_f16_e32 v71, v33, v45
	v_sub_f16_e32 v55, v43, v29
	v_mul_f16_e32 v67, 0xb770, v46
	v_sub_f16_e32 v31, v62, v48
	v_add_f16_e32 v77, v2, v17
	v_add_f16_e32 v64, v26, v42
	v_lshrrev_b32_e32 v19, 1, v19
	v_mul_f16_e32 v59, 0xba95, v55
	v_fma_f16 v57, v71, 0x3b15, -v67
	v_sub_f16_e32 v56, v41, v35
	v_pk_mul_f16 v82, 0x388b3b15, v23 op_sel_hi:[1,0]
	v_lshl_add_u32 v19, v19, 1, v19
	v_add_f16_e32 v66, v25, v40
	v_fma_f16 v68, v64, 0x388b, -v59
	v_add_f16_e32 v69, v9, v57
	v_mul_f16_e32 v65, 0xbbf1, v56
	v_sub_f16_e32 v57, v39, v38
	v_sub_f16_e32 v78, v63, v49
	v_add_f16_e32 v79, v3, v16
	v_pk_fma_f16 v75, 0xba95b770, v31, v82 op_sel_hi:[1,0,1] neg_lo:[0,1,0] neg_hi:[0,1,0]
	v_pk_mul_f16 v85, 0xb5ac388b, v77 op_sel_hi:[1,0]
	v_sub_nc_u32_e32 v1, v1, v19
	v_add_f16_e32 v19, v69, v68
	v_fma_f16 v70, v66, 0x2fb7, -v65
	v_add_f16_e32 v69, v24, v34
	v_mul_f16_e32 v68, 0xbb7b, v57
	v_sub_f16_e32 v80, v61, v50
	v_add_f16_e32 v81, v5, v15
	v_pk_add_f16 v86, v75, v8 op_sel_hi:[1,0]
	v_pk_fma_f16 v87, 0xbb7bba95, v78, v85 op_sel_hi:[1,0,1] neg_lo:[0,1,0] neg_hi:[0,1,0]
	v_pk_mul_f16 v88, 0xbbc42fb7, v79 op_sel_hi:[1,0]
	v_pk_mul_f16 v90, 0xb5ac2fb7, v23 op_sel_hi:[1,0]
	v_add_f16_e32 v19, v19, v70
	v_fma_f16 v70, v69, 0xb5ac, -v68
	v_sub_f16_e32 v83, v60, v51
	v_add_f16_e32 v84, v10, v14
	v_sub_f16_e32 v72, v36, v37
	v_pk_add_f16 v86, v87, v86
	v_pk_fma_f16 v87, 0xb3a8bbf1, v80, v88 op_sel_hi:[1,0,1] neg_lo:[0,1,0] neg_hi:[0,1,0]
	v_pk_mul_f16 v91, 0xb9fdb5ac, v81 op_sel_hi:[1,0]
	v_pk_fma_f16 v92, 0xbb7bbbf1, v31, v90 op_sel_hi:[1,0,1] neg_lo:[0,1,0] neg_hi:[0,1,0]
	v_pk_mul_f16 v93, 0xb9fdbbc4, v77 op_sel_hi:[1,0]
	v_add_f16_e32 v19, v19, v70
	v_add_f16_e32 v74, v22, v28
	v_mul_f16_e32 v73, 0xb94e, v72
	v_sub_f16_e32 v70, v30, v32
	v_sub_f16_e32 v94, v58, v52
	v_pk_add_f16 v92, v92, v8 op_sel_hi:[1,0]
	v_pk_fma_f16 v95, 0x394eb3a8, v78, v93 op_sel_hi:[1,0,1] neg_lo:[0,1,0] neg_hi:[0,1,0]
	v_pk_mul_f16 v96, 0x3b15b5ac, v79 op_sel_hi:[1,0]
	v_pk_add_f16 v86, v87, v86
	v_pk_fma_f16 v87, 0x394ebb7b, v83, v91 op_sel_hi:[1,0,1] neg_lo:[0,1,0] neg_hi:[0,1,0]
	v_pk_mul_f16 v97, 0x2fb7b9fd, v84 op_sel_hi:[1,0]
	v_fma_f16 v89, v74, 0xb9fd, -v73
	v_add_f16_e32 v75, v20, v21
	v_mul_f16_e32 v76, 0xb3a8, v70
	v_pk_add_f16 v92, v95, v92
	v_pk_fma_f16 v95, 0x37703b7b, v80, v96 op_sel_hi:[1,0,1] neg_lo:[0,1,0] neg_hi:[0,1,0]
	v_pk_mul_f16 v98, 0x2fb73b15, v81 op_sel_hi:[1,0]
	v_pk_add_f16 v86, v87, v86
	v_pk_fma_f16 v87, 0x3bf1b94e, v94, v97 op_sel_hi:[1,0,1] neg_lo:[0,1,0] neg_hi:[0,1,0]
	v_add_f16_e32 v99, v8, v0
	v_add_f16_e32 v19, v19, v89
	v_fma_f16 v89, v75, 0xbbc4, -v76
	v_pk_add_f16 v92, v95, v92
	v_pk_fma_f16 v95, 0xbbf13770, v83, v98 op_sel_hi:[1,0,1] neg_lo:[0,1,0] neg_hi:[0,1,0]
	v_pk_add_f16 v86, v87, v86
	v_add_f16_e32 v87, v99, v2
	v_add_f16_e32 v19, v19, v89
	v_pk_mul_f16 v23, 0xbbc4b9fd, v23 op_sel_hi:[1,0]
	v_pk_add_f16 v89, v95, v92
	v_add_f16_e32 v92, v9, v33
	v_add_f16_e32 v87, v87, v3
	v_pk_mul_f16 v77, 0x3b152fb7, v77 op_sel_hi:[1,0]
	v_pk_fma_f16 v99, 0xb3a8b94e, v31, v23 op_sel_hi:[1,0,1] neg_lo:[0,1,0] neg_hi:[0,1,0]
	v_pk_fma_f16 v23, 0xb3a8b94e, v31, v23 op_sel_hi:[1,0,1]
	v_add_f16_e32 v92, v92, v26
	v_add_f16_e32 v87, v87, v5
	v_pk_mul_f16 v95, 0xbbc4388b, v84 op_sel_hi:[1,0]
	v_pk_fma_f16 v101, 0x37703bf1, v78, v77 op_sel_hi:[1,0,1] neg_lo:[0,1,0] neg_hi:[0,1,0]
	v_pk_add_f16 v23, v23, v8 op_sel_hi:[1,0]
	v_add_f16_e32 v92, v92, v25
	v_add_f16_e32 v87, v87, v10
	v_pk_fma_f16 v77, 0x37703bf1, v78, v77 op_sel_hi:[1,0,1]
	v_pk_fma_f16 v100, 0x33a8ba95, v94, v95 op_sel_hi:[1,0,1] neg_lo:[0,1,0] neg_hi:[0,1,0]
	v_pk_mul_f16 v79, 0xb9fd388b, v79 op_sel_hi:[1,0]
	v_add_f16_e32 v92, v92, v24
	v_add_f16_e32 v87, v87, v11
	v_pk_fma_f16 v90, 0xbb7bbbf1, v31, v90 op_sel_hi:[1,0,1]
	v_pk_add_f16 v23, v77, v23
	v_pk_add_f16 v89, v100, v89
	v_add_f16_e32 v92, v92, v22
	v_add_f16_e32 v87, v87, v12
	v_pk_fma_f16 v100, 0xb94eba95, v80, v79 op_sel_hi:[1,0,1] neg_lo:[0,1,0] neg_hi:[0,1,0]
	v_pk_fma_f16 v79, 0xb94eba95, v80, v79 op_sel_hi:[1,0,1]
	v_pk_fma_f16 v31, 0xba95b770, v31, v82 op_sel_hi:[1,0,1]
	v_add_f16_e32 v92, v92, v20
	v_add_f16_e32 v87, v87, v14
	v_pk_add_f16 v99, v99, v8 op_sel_hi:[1,0]
	v_pk_add_f16 v23, v79, v23
	v_pk_add_f16 v31, v31, v8 op_sel_hi:[1,0]
	v_add_f16_e32 v92, v92, v21
	v_add_f16_e32 v77, v87, v15
	v_pk_add_f16 v87, v90, v8 op_sel_hi:[1,0]
	v_mul_u32_u24_e32 v8, 0x222, v1
	v_pk_add_f16 v99, v101, v99
	v_add_f16_e32 v90, v28, v92
	v_add_f16_e32 v77, v77, v16
	v_pk_fma_f16 v92, 0x394eb3a8, v78, v93 op_sel_hi:[1,0,1]
	v_pk_mul_f16 v81, 0x388bbbc4, v81 op_sel_hi:[1,0]
	v_pk_add_f16 v99, v100, v99
	v_add_f16_e32 v79, v34, v90
	v_add_f16_e32 v77, v77, v17
	v_pk_add_f16 v82, v92, v87
	v_pk_fma_f16 v100, 0x3a9533a8, v83, v81 op_sel_hi:[1,0,1] neg_lo:[0,1,0] neg_hi:[0,1,0]
	v_pk_fma_f16 v81, 0x3a9533a8, v83, v81 op_sel_hi:[1,0,1]
	v_add_f16_e32 v1, v40, v79
	v_pk_fma_f16 v79, 0x37703b7b, v80, v96 op_sel_hi:[1,0,1]
	v_add_f16_e32 v87, v77, v18
	;; [unrolled: 2-line block ×3, first 2 shown]
	v_add_f16_e32 v1, v42, v1
	v_pk_add_f16 v79, v79, v82
	v_mad_u32_u24 v82, v4, 26, 0
	v_pk_add_f16 v77, v77, v31
	v_pk_fma_f16 v80, 0xb3a8bbf1, v80, v88 op_sel_hi:[1,0,1]
	v_sub_f16_e32 v85, v54, v53
	v_pk_mul_f16 v88, 0x3b15bbc4, v78 op_sel_hi:[1,0]
	v_add_f16_e32 v31, v45, v1
	v_lshl_add_u32 v1, v8, 1, v82
	v_pk_add_f16 v80, v80, v77
	v_pk_fma_f16 v82, 0xbbf13770, v83, v98 op_sel_hi:[1,0,1]
	v_pk_mul_f16 v84, 0xb5ac3b15, v84 op_sel_hi:[1,0]
	v_pk_fma_f16 v83, 0x394ebb7b, v83, v91 op_sel_hi:[1,0,1]
	v_pk_fma_f16 v77, 0x3770b3a8, v85, v88 op_sel_hi:[1,0,1] neg_lo:[0,1,0] neg_hi:[0,1,0]
	v_pk_add_f16 v23, v81, v23
	v_pk_mul_f16 v81, 0x388bb9fd, v78 op_sel_hi:[1,0]
	v_pk_mul_f16 v78, 0x2fb7b5ac, v78 op_sel_hi:[1,0]
	v_pk_add_f16 v80, v83, v80
	v_pk_fma_f16 v83, 0xbb7b3770, v94, v84 op_sel_hi:[1,0,1]
	v_pk_add_f16 v77, v77, v86
	v_pk_add_f16 v79, v82, v79
	v_pk_fma_f16 v82, 0xbb7b3770, v94, v84 op_sel_hi:[1,0,1] neg_lo:[0,1,0] neg_hi:[0,1,0]
	v_pk_fma_f16 v84, 0x33a8ba95, v94, v95 op_sel_hi:[1,0,1]
	v_pk_fma_f16 v86, 0x3bf1b94e, v94, v97 op_sel_hi:[1,0,1]
	v_pk_add_f16 v99, v100, v99
	v_pk_add_f16 v23, v83, v23
	v_pk_fma_f16 v83, 0x3bf1bb7b, v85, v78 op_sel_hi:[1,0,1]
	v_pk_fma_f16 v90, 0x3a95b94e, v85, v81 op_sel_hi:[1,0,1] neg_lo:[0,1,0] neg_hi:[0,1,0]
	v_pk_add_f16 v79, v84, v79
	v_pk_fma_f16 v81, 0x3a95b94e, v85, v81 op_sel_hi:[1,0,1]
	v_pk_add_f16 v80, v86, v80
	v_pk_fma_f16 v84, 0x3770b3a8, v85, v88 op_sel_hi:[1,0,1]
	v_pk_add_f16 v82, v82, v99
	v_pk_fma_f16 v85, 0x3bf1bb7b, v85, v78 op_sel_hi:[1,0,1] neg_lo:[0,1,0] neg_hi:[0,1,0]
	v_pk_add_f16 v83, v83, v23
	v_pk_add_f16 v81, v81, v79
	;; [unrolled: 1-line block ×3, first 2 shown]
	v_cmp_gt_u32_e64 s1, 3, v4
	v_pk_add_f16 v78, v90, v89
	v_pk_add_f16 v79, v85, v82
	v_alignbit_b32 v80, v83, v83, 16
	v_alignbit_b32 v81, v81, v81, 16
	;; [unrolled: 1-line block ×3, first 2 shown]
	ds_store_b16 v1, v87
	ds_store_b128 v1, v[77:80] offset:2
	ds_store_b64 v1, v[81:82] offset:18
	s_and_saveexec_b32 s0, s1
	s_cbranch_execz .LBB0_14
; %bb.13:
	v_mul_f16_e32 v77, 0xb3a8, v46
	v_mul_f16_e32 v81, 0x3770, v55
	;; [unrolled: 1-line block ×5, first 2 shown]
	v_fma_f16 v82, v71, 0xbbc4, -v77
	v_fma_f16 v86, v64, 0x3b15, -v81
	;; [unrolled: 1-line block ×4, first 2 shown]
	v_mul_f16_e32 v88, 0xbbc4, v71
	v_add_f16_e32 v82, v9, v82
	v_fma_f16 v96, v74, 0xb5ac, -v92
	v_pk_mul_f16 v97, 0xb9fdb5ac, v71 op_sel_hi:[1,0]
	v_pk_mul_f16 v98, 0xb94ebb7b, v46 op_sel_hi:[1,0]
	;; [unrolled: 1-line block ×3, first 2 shown]
	v_add_f16_e32 v82, v82, v86
	v_mul_f16_e32 v78, 0x3b15, v71
	v_mul_f16_e32 v86, 0x3b15, v64
	;; [unrolled: 1-line block ×3, first 2 shown]
	v_pk_mul_f16 v100, 0x3bf1394e, v55 op_sel_hi:[1,0]
	v_add_f16_e32 v82, v82, v90
	v_pk_fma_f16 v109, 0x2fb7388b, v71, v104 op_sel_hi:[1,0,1] neg_lo:[0,0,1] neg_hi:[0,0,1]
	v_pk_mul_f16 v110, 0xb3a8bb7b, v55 op_sel_hi:[1,0]
	v_pk_mul_f16 v111, 0x2fb7388b, v71 op_sel_hi:[1,0]
	v_bfi_b32 v77, 0xffff, v77, v98
	v_add_f16_e32 v82, v82, v93
	v_bfi_b32 v88, 0xffff, v88, v97
	v_mul_f16_e32 v79, 0x388b, v64
	v_mul_f16_e32 v91, 0xb9fd, v66
	v_fma_f16 v99, v75, 0x2fb7, -v95
	v_add_f16_e32 v82, v82, v96
	v_pk_mul_f16 v96, 0x2fb7b9fd, v64 op_sel_hi:[1,0]
	v_pk_mul_f16 v101, 0x388b3b15, v66 op_sel_hi:[1,0]
	v_pk_mul_f16 v102, 0xba953770, v56 op_sel_hi:[1,0]
	v_pk_mul_f16 v112, 0xbbc4b5ac, v64 op_sel_hi:[1,0]
	v_pk_add_f16 v109, v9, v109 op_sel_hi:[0,1]
	v_pk_fma_f16 v114, 0xbbc4b5ac, v64, v110 op_sel_hi:[1,0,1] neg_lo:[0,0,1] neg_hi:[0,0,1]
	v_pk_mul_f16 v115, 0x3b7bb3a8, v56 op_sel_hi:[1,0]
	v_pk_fma_f16 v98, 0xb9fdb5ac, v71, v98 op_sel_hi:[1,0,1] neg_lo:[0,0,1] neg_hi:[0,0,1]
	v_pk_add_f16 v77, v77, v88
	v_bfi_b32 v81, 0xffff, v81, v100
	v_bfi_b32 v86, 0xffff, v86, v96
	v_pk_mul_f16 v71, 0x2fb7b5ac, v71 op_sel_hi:[1,0]
	v_perm_b32 v67, v67, v104, 0x5040100
	v_perm_b32 v78, v78, v111, 0x5040100
	v_mul_f16_e32 v80, 0x2fb7, v66
	v_mul_f16_e32 v90, 0x388b, v69
	v_add_f16_e32 v82, v82, v99
	v_pk_mul_f16 v99, 0xbbc42fb7, v69 op_sel_hi:[1,0]
	v_pk_mul_f16 v103, 0x33a8bbf1, v57 op_sel_hi:[1,0]
	;; [unrolled: 1-line block ×4, first 2 shown]
	v_pk_add_f16 v109, v109, v114
	v_pk_fma_f16 v114, 0xb5acbbc4, v66, v115 op_sel_hi:[1,0,1] neg_lo:[0,0,1] neg_hi:[0,0,1]
	v_pk_add_f16 v96, v9, v98 op_sel_hi:[0,1]
	v_pk_fma_f16 v98, 0x2fb7b9fd, v64, v100 op_sel_hi:[1,0,1] neg_lo:[0,0,1] neg_hi:[0,0,1]
	v_pk_add_f16 v77, v9, v77 op_sel_hi:[0,1]
	v_pk_add_f16 v81, v81, v86
	v_bfi_b32 v85, 0xffff, v85, v102
	v_bfi_b32 v86, 0xffff, v91, v101
	v_pk_fma_f16 v46, 0xbbf1bb7b, v46, v71 op_sel_hi:[1,0,1]
	v_pk_mul_f16 v64, 0xbbc4b9fd, v64 op_sel_hi:[1,0]
	v_pk_add_f16 v67, v67, v78
	v_perm_b32 v59, v59, v110, 0x5040100
	v_perm_b32 v71, v79, v112, 0x5040100
	v_mul_f16_e32 v83, 0xb5ac, v69
	v_mul_f16_e32 v94, 0xb5ac, v74
	v_pk_mul_f16 v105, 0x3b15bbc4, v74 op_sel_hi:[1,0]
	v_pk_mul_f16 v106, 0x377033a8, v72 op_sel_hi:[1,0]
	;; [unrolled: 1-line block ×4, first 2 shown]
	v_pk_add_f16 v109, v109, v114
	v_pk_fma_f16 v114, 0x3b15b9fd, v69, v117 op_sel_hi:[1,0,1] neg_lo:[0,0,1] neg_hi:[0,0,1]
	v_pk_add_f16 v96, v96, v98
	v_pk_fma_f16 v98, 0x388b3b15, v66, v102 op_sel_hi:[1,0,1] neg_lo:[0,0,1] neg_hi:[0,0,1]
	v_pk_add_f16 v77, v77, v81
	v_pk_add_f16 v81, v85, v86
	v_bfi_b32 v85, 0xffff, v89, v103
	v_bfi_b32 v86, 0xffff, v90, v99
	v_pk_add_f16 v46, v9, v46 op_sel_hi:[0,1]
	v_pk_fma_f16 v55, 0xb3a8394e, v55, v64 op_sel_hi:[1,0,1]
	v_pk_mul_f16 v64, 0xb5ac3b15, v66 op_sel_hi:[1,0]
	v_pk_add_f16 v9, v9, v67 op_sel_hi:[0,1]
	v_pk_add_f16 v59, v59, v71
	v_perm_b32 v65, v65, v115, 0x5040100
	v_perm_b32 v66, v80, v113, 0x5040100
	v_mul_f16_e32 v84, 0xb9fd, v74
	v_pk_mul_f16 v118, 0x388b2fb7, v74 op_sel_hi:[1,0]
	v_pk_mul_f16 v97, 0xb94e3770, v70 op_sel_hi:[1,0]
	v_pk_add_f16 v88, v109, v114
	v_pk_fma_f16 v91, 0x388b2fb7, v74, v119 op_sel_hi:[1,0,1] neg_lo:[0,0,1] neg_hi:[0,0,1]
	v_pk_add_f16 v89, v96, v98
	v_pk_fma_f16 v90, 0xbbc42fb7, v69, v103 op_sel_hi:[1,0,1] neg_lo:[0,0,1] neg_hi:[0,0,1]
	v_pk_add_f16 v77, v77, v81
	v_pk_add_f16 v81, v85, v86
	v_bfi_b32 v85, 0xffff, v92, v106
	v_bfi_b32 v86, 0xffff, v94, v105
	v_pk_add_f16 v46, v46, v55
	v_pk_fma_f16 v55, 0x3b7b3770, v56, v64 op_sel_hi:[1,0,1]
	v_pk_mul_f16 v56, 0x3b152fb7, v69 op_sel_hi:[1,0]
	v_pk_add_f16 v9, v9, v59
	v_pk_add_f16 v59, v65, v66
	v_perm_b32 v64, v68, v117, 0x5040100
	v_perm_b32 v65, v83, v116, 0x5040100
	v_mul_f16_e32 v87, 0xbbc4, v75
	v_mul_f16_e32 v93, 0x2fb7, v75
	v_pk_mul_f16 v107, 0xb5ac388b, v75 op_sel_hi:[1,0]
	v_pk_mul_f16 v108, 0xbb7b3a95, v70 op_sel_hi:[1,0]
	v_pk_add_f16 v88, v88, v91
	v_pk_fma_f16 v91, 0xb9fd3b15, v75, v97 op_sel_hi:[1,0,1] neg_lo:[0,0,1] neg_hi:[0,0,1]
	v_pk_add_f16 v89, v89, v90
	v_pk_fma_f16 v90, 0x3b15bbc4, v74, v106 op_sel_hi:[1,0,1] neg_lo:[0,0,1] neg_hi:[0,0,1]
	v_pk_add_f16 v81, v77, v81
	v_pk_add_f16 v85, v85, v86
	v_pk_mul_f16 v86, 0xb9fd3b15, v75 op_sel_hi:[1,0]
	v_pk_add_f16 v46, v46, v55
	v_pk_fma_f16 v55, 0x3770bbf1, v57, v56 op_sel_hi:[1,0,1]
	v_pk_mul_f16 v56, 0x388bbbc4, v74 op_sel_hi:[1,0]
	v_pk_add_f16 v9, v9, v59
	v_pk_add_f16 v57, v64, v65
	v_perm_b32 v59, v73, v119, 0x5040100
	v_perm_b32 v64, v84, v118, 0x5040100
	v_pk_add_f16 v77, v88, v91
	v_pk_add_f16 v88, v89, v90
	;; [unrolled: 1-line block ×3, first 2 shown]
	v_bfi_b32 v85, 0xffff, v95, v108
	v_bfi_b32 v90, 0xffff, v93, v107
	v_pk_add_f16 v46, v46, v55
	v_pk_fma_f16 v55, 0xba9533a8, v72, v56 op_sel_hi:[1,0,1]
	v_pk_mul_f16 v56, 0xb9fd388b, v75 op_sel_hi:[1,0]
	v_pk_add_f16 v9, v9, v57
	v_pk_add_f16 v57, v59, v64
	v_perm_b32 v59, v76, v97, 0x5040100
	v_perm_b32 v64, v87, v86, 0x5040100
	v_pk_fma_f16 v89, 0xb5ac388b, v75, v108 op_sel_hi:[1,0,1] neg_lo:[0,0,1] neg_hi:[0,0,1]
	v_pk_add_f16 v65, v85, v90
	v_pk_add_f16 v46, v46, v55
	v_pk_fma_f16 v56, 0xb94e3a95, v70, v56 op_sel_hi:[1,0,1]
	v_pk_add_f16 v9, v9, v57
	v_pk_add_f16 v57, v59, v64
	;; [unrolled: 1-line block ×3, first 2 shown]
	v_perm_b32 v76, v19, v31, 0x5040100
	v_pk_add_f16 v55, v81, v65
	v_pk_add_f16 v56, v46, v56
	;; [unrolled: 1-line block ×3, first 2 shown]
	ds_store_b96 v1, v[76:78] offset:1014
	ds_store_b16 v1, v82 offset:1026
	ds_store_b96 v1, v[55:57] offset:1028
.LBB0_14:
	s_wait_alu 0xfffe
	s_or_b32 exec_lo, exec_lo, s0
	v_lshlrev_b32_e32 v46, 1, v8
	v_lshlrev_b32_e32 v9, 1, v4
	global_wb scope:SCOPE_SE
	s_wait_dscnt 0x0
	s_barrier_signal -1
	s_barrier_wait -1
	global_inv scope:SCOPE_SE
	v_add3_u32 v8, 0, v46, v9
	v_add3_u32 v9, 0, v9, v46
	v_cmp_gt_u32_e64 s0, 26, v4
	ds_load_u16 v55, v8
	ds_load_u16 v56, v9 offset:78
	ds_load_u16 v57, v9 offset:156
	;; [unrolled: 1-line block ×11, first 2 shown]
	s_and_saveexec_b32 s2, s0
	s_cbranch_execz .LBB0_16
; %bb.15:
	ds_load_u16 v23, v9 offset:312
	ds_load_u16 v31, v9 offset:676
	;; [unrolled: 1-line block ×3, first 2 shown]
.LBB0_16:
	s_wait_alu 0xfffe
	s_or_b32 exec_lo, exec_lo, s2
	v_add_f16_e32 v72, v47, v62
	v_sub_f16_e32 v2, v2, v17
	v_sub_f16_e32 v15, v5, v15
	;; [unrolled: 1-line block ×3, first 2 shown]
	v_add_f16_e32 v62, v62, v48
	v_add_f16_e32 v17, v72, v63
	v_sub_f16_e32 v11, v11, v12
	v_add_f16_e32 v18, v63, v49
	v_pk_mul_f16 v12, 0xba95b770, v0 op_sel_hi:[1,0]
	v_sub_f16_e32 v3, v3, v16
	v_add_f16_e32 v5, v17, v61
	v_sub_f16_e32 v10, v10, v14
	v_add_f16_e32 v72, v54, v53
	v_pk_mul_f16 v14, 0xbb7bba95, v2 op_sel_hi:[1,0]
	v_add_f16_e32 v63, v61, v50
	v_add_f16_e32 v5, v5, v60
	v_pk_mul_f16 v17, 0xb3a8bbf1, v3 op_sel_hi:[1,0]
	v_add_f16_e32 v16, v60, v51
	v_pk_fma_f16 v77, 0xb5ac388b, v18, v14 op_sel_hi:[1,0,1]
	v_add_f16_e32 v61, v58, v52
	v_add_f16_e32 v5, v5, v58
	v_pk_mul_f16 v60, 0x394ebb7b, v15 op_sel_hi:[1,0]
	v_pk_fma_f16 v78, 0xbbc42fb7, v63, v17 op_sel_hi:[1,0,1]
	v_pk_fma_f16 v14, 0xb5ac388b, v18, v14 op_sel_hi:[1,0,1] neg_lo:[0,0,1] neg_hi:[0,0,1]
	v_pk_mul_f16 v58, 0x3bf1b94e, v10 op_sel_hi:[1,0]
	v_add_f16_e32 v5, v5, v54
	v_pk_fma_f16 v54, 0x388b3b15, v62, v12 op_sel_hi:[1,0,1]
	v_pk_fma_f16 v12, 0x388b3b15, v62, v12 op_sel_hi:[1,0,1] neg_lo:[0,0,1] neg_hi:[0,0,1]
	v_pk_mul_f16 v74, 0xbb7bbbf1, v0 op_sel_hi:[1,0]
	v_pk_fma_f16 v17, 0xbbc42fb7, v63, v17 op_sel_hi:[1,0,1] neg_lo:[0,0,1] neg_hi:[0,0,1]
	v_add_f16_e32 v5, v5, v53
	v_pk_add_f16 v53, v54, v47 op_sel_hi:[1,0]
	v_pk_add_f16 v12, v12, v47 op_sel_hi:[1,0]
	v_pk_fma_f16 v54, 0xb9fdb5ac, v16, v60 op_sel_hi:[1,0,1]
	v_pk_mul_f16 v73, 0x3770b3a8, v11 op_sel_hi:[1,0]
	v_add_f16_e32 v5, v5, v52
	v_pk_add_f16 v52, v77, v53
	v_pk_add_f16 v12, v14, v12
	v_pk_mul_f16 v75, 0x394eb3a8, v2 op_sel_hi:[1,0]
	v_pk_fma_f16 v53, 0x2fb7b9fd, v61, v58 op_sel_hi:[1,0,1]
	v_add_f16_e32 v5, v5, v51
	v_pk_add_f16 v51, v78, v52
	v_pk_fma_f16 v52, 0xb9fdb5ac, v16, v60 op_sel_hi:[1,0,1] neg_lo:[0,0,1] neg_hi:[0,0,1]
	v_pk_add_f16 v12, v17, v12
	v_pk_mul_f16 v76, 0x37703b7b, v3 op_sel_hi:[1,0]
	v_add_f16_e32 v5, v5, v50
	v_pk_add_f16 v50, v54, v51
	v_pk_fma_f16 v51, 0xb5ac2fb7, v62, v74 op_sel_hi:[1,0,1]
	v_pk_fma_f16 v14, 0x3b15bbc4, v72, v73 op_sel_hi:[1,0,1]
	v_pk_fma_f16 v17, 0x2fb7b9fd, v61, v58 op_sel_hi:[1,0,1] neg_lo:[0,0,1] neg_hi:[0,0,1]
	v_add_f16_e32 v5, v5, v49
	v_pk_add_f16 v49, v53, v50
	v_pk_add_f16 v12, v52, v12
	v_pk_fma_f16 v50, 0xb9fdbbc4, v18, v75 op_sel_hi:[1,0,1]
	v_pk_add_f16 v51, v51, v47 op_sel_hi:[1,0]
	v_add_f16_e32 v52, v5, v48
	v_pk_add_f16 v48, v14, v49
	v_pk_add_f16 v5, v17, v12
	v_pk_fma_f16 v12, 0xb5ac2fb7, v62, v74 op_sel_hi:[1,0,1] neg_lo:[0,0,1] neg_hi:[0,0,1]
	v_pk_add_f16 v14, v50, v51
	v_pk_fma_f16 v17, 0x3b15b5ac, v63, v76 op_sel_hi:[1,0,1]
	v_pk_mul_f16 v49, 0xbbf13770, v15 op_sel_hi:[1,0]
	v_pk_fma_f16 v50, 0x3b15bbc4, v72, v73 op_sel_hi:[1,0,1] neg_lo:[0,0,1] neg_hi:[0,0,1]
	v_pk_add_f16 v12, v12, v47 op_sel_hi:[1,0]
	v_pk_fma_f16 v51, 0xb9fdbbc4, v18, v75 op_sel_hi:[1,0,1] neg_lo:[0,0,1] neg_hi:[0,0,1]
	v_pk_add_f16 v14, v17, v14
	v_pk_fma_f16 v17, 0x2fb73b15, v16, v49 op_sel_hi:[1,0,1]
	v_pk_mul_f16 v53, 0x33a8ba95, v10 op_sel_hi:[1,0]
	v_pk_add_f16 v5, v50, v5
	v_pk_add_f16 v12, v51, v12
	v_pk_fma_f16 v50, 0x3b15b5ac, v63, v76 op_sel_hi:[1,0,1] neg_lo:[0,0,1] neg_hi:[0,0,1]
	v_pk_add_f16 v14, v17, v14
	v_pk_fma_f16 v17, 0xbbc4388b, v61, v53 op_sel_hi:[1,0,1]
	v_pk_mul_f16 v51, 0x3a95b94e, v11 op_sel_hi:[1,0]
	v_pk_mul_f16 v0, 0xb3a8b94e, v0 op_sel_hi:[1,0]
	v_pk_add_f16 v12, v50, v12
	v_pk_fma_f16 v49, 0x2fb73b15, v16, v49 op_sel_hi:[1,0,1] neg_lo:[0,0,1] neg_hi:[0,0,1]
	v_pk_add_f16 v14, v17, v14
	v_pk_fma_f16 v17, 0x388bb9fd, v72, v51 op_sel_hi:[1,0,1]
	v_pk_fma_f16 v50, 0xbbc4b9fd, v62, v0 op_sel_hi:[1,0,1]
	v_pk_mul_f16 v2, 0x37703bf1, v2 op_sel_hi:[1,0]
	v_pk_add_f16 v12, v49, v12
	v_pk_fma_f16 v53, 0xbbc4388b, v61, v53 op_sel_hi:[1,0,1] neg_lo:[0,0,1] neg_hi:[0,0,1]
	v_pk_add_f16 v49, v17, v14
	v_pk_add_f16 v14, v50, v47 op_sel_hi:[1,0]
	v_pk_fma_f16 v17, 0x3b152fb7, v18, v2 op_sel_hi:[1,0,1]
	v_pk_mul_f16 v3, 0xb94eba95, v3 op_sel_hi:[1,0]
	v_pk_add_f16 v50, v53, v12
	v_pk_fma_f16 v0, 0xbbc4b9fd, v62, v0 op_sel_hi:[1,0,1] neg_lo:[0,0,1] neg_hi:[0,0,1]
	v_pk_mul_f16 v15, 0x3a9533a8, v15 op_sel_hi:[1,0]
	v_pk_add_f16 v12, v17, v14
	v_pk_fma_f16 v14, 0xb9fd388b, v63, v3 op_sel_hi:[1,0,1]
	v_add_f16_e32 v17, v13, v44
	v_pk_add_f16 v0, v0, v47 op_sel_hi:[1,0]
	v_pk_fma_f16 v2, 0x3b152fb7, v18, v2 op_sel_hi:[1,0,1] neg_lo:[0,0,1] neg_hi:[0,0,1]
	v_pk_mul_f16 v10, 0xbb7b3770, v10 op_sel_hi:[1,0]
	v_pk_add_f16 v12, v14, v12
	v_pk_fma_f16 v14, 0x388bbbc4, v16, v15 op_sel_hi:[1,0,1]
	v_add_f16_e32 v17, v17, v43
	v_pk_add_f16 v0, v2, v0
	v_pk_fma_f16 v2, 0xb9fd388b, v63, v3 op_sel_hi:[1,0,1] neg_lo:[0,0,1] neg_hi:[0,0,1]
	v_sub_f16_e32 v18, v33, v45
	v_pk_add_f16 v3, v14, v12
	v_add_f16_e32 v12, v17, v41
	v_pk_fma_f16 v14, 0xb5ac3b15, v61, v10 op_sel_hi:[1,0,1]
	v_pk_add_f16 v0, v2, v0
	v_pk_fma_f16 v2, 0x388bbbc4, v16, v15 op_sel_hi:[1,0,1] neg_lo:[0,0,1] neg_hi:[0,0,1]
	v_add_f16_e32 v33, v44, v27
	v_add_f16_e32 v12, v12, v39
	v_pk_mul_f16 v17, 0xba95b770, v18 op_sel_hi:[1,0]
	v_sub_f16_e32 v26, v26, v42
	v_pk_add_f16 v0, v2, v0
	v_pk_add_f16 v47, v14, v3
	v_add_f16_e32 v2, v12, v36
	v_add_f16_e32 v42, v43, v29
	v_pk_fma_f16 v12, 0x388b3b15, v33, v17 op_sel_hi:[1,0,1]
	v_pk_mul_f16 v3, 0xbb7bba95, v26 op_sel_hi:[1,0]
	v_sub_f16_e32 v40, v25, v40
	v_add_f16_e32 v2, v2, v30
	v_add_f16_e32 v41, v41, v35
	v_pk_add_f16 v14, v13, v12 op_sel_hi:[0,1]
	v_pk_fma_f16 v15, 0xb5ac388b, v42, v3 op_sel_hi:[1,0,1]
	v_pk_mul_f16 v12, 0xb3a8bbf1, v40 op_sel_hi:[1,0]
	v_add_f16_e32 v2, v2, v32
	v_sub_f16_e32 v25, v24, v34
	v_add_f16_e32 v34, v39, v38
	v_pk_add_f16 v15, v14, v15
	v_pk_fma_f16 v16, 0xbbc42fb7, v41, v12 op_sel_hi:[1,0,1]
	v_add_f16_e32 v2, v37, v2
	v_pk_mul_f16 v14, 0x394ebb7b, v25 op_sel_hi:[1,0]
	v_sub_f16_e32 v22, v22, v28
	v_add_f16_e32 v24, v36, v37
	v_pk_add_f16 v28, v15, v16
	v_add_f16_e32 v2, v38, v2
	v_pk_fma_f16 v36, 0xb9fdb5ac, v34, v14 op_sel_hi:[1,0,1]
	v_pk_mul_f16 v15, 0x3bf1b94e, v22 op_sel_hi:[1,0]
	v_sub_f16_e32 v16, v20, v21
	v_pk_mul_f16 v11, 0x3bf1bb7b, v11 op_sel_hi:[1,0]
	v_pk_fma_f16 v10, 0xb5ac3b15, v61, v10 op_sel_hi:[1,0,1] neg_lo:[0,0,1] neg_hi:[0,0,1]
	v_add_f16_e32 v21, v35, v2
	v_add_f16_e32 v20, v30, v32
	v_pk_add_f16 v28, v28, v36
	v_pk_fma_f16 v30, 0x2fb7b9fd, v24, v15 op_sel_hi:[1,0,1]
	v_pk_mul_f16 v2, 0x3770b3a8, v16 op_sel_hi:[1,0]
	v_pk_add_f16 v0, v10, v0
	v_pk_fma_f16 v10, 0x2fb7b5ac, v72, v11 op_sel_hi:[1,0,1] neg_lo:[0,0,1] neg_hi:[0,0,1]
	v_pk_fma_f16 v51, 0x388bb9fd, v72, v51 op_sel_hi:[1,0,1] neg_lo:[0,0,1] neg_hi:[0,0,1]
	v_pk_fma_f16 v45, 0x2fb7b5ac, v72, v11 op_sel_hi:[1,0,1]
	v_add_f16_e32 v11, v29, v21
	v_pk_add_f16 v21, v28, v30
	v_pk_fma_f16 v28, 0x3b15bbc4, v20, v2 op_sel_hi:[1,0,1]
	v_pk_add_f16 v30, v10, v0
	v_pk_add_f16 v29, v51, v50
	v_add_f16_e32 v11, v27, v11
	v_add_nc_u32_e32 v10, 39, v4
	v_pk_add_f16 v0, v21, v28
	v_pk_add_f16 v50, v45, v47
	v_alignbit_b32 v51, v30, v30, 16
	v_alignbit_b32 v27, v29, v29, 16
	;; [unrolled: 1-line block ×3, first 2 shown]
	global_wb scope:SCOPE_SE
	s_wait_dscnt 0x0
	s_barrier_signal -1
	s_barrier_wait -1
	global_inv scope:SCOPE_SE
	ds_store_b16 v1, v52
	ds_store_b128 v1, v[48:51] offset:2
	ds_store_b64 v1, v[27:28] offset:18
	s_and_saveexec_b32 s2, s1
	s_cbranch_execz .LBB0_18
; %bb.17:
	v_pk_mul_f16 v21, 0x388b3b15, v33 op_sel_hi:[1,0]
	v_pack_b32_f16 v18, v18, v18
	v_perm_b32 v13, v13, v13, 0x5040100
	v_pk_mul_f16 v28, 0xb5ac388b, v42 op_sel_hi:[1,0]
	v_pack_b32_f16 v1, v33, v33
	v_pk_add_f16 v17, v21, v17 neg_lo:[0,1] neg_hi:[0,1]
	v_pack_b32_f16 v26, v26, v26
	v_pk_mul_f16 v30, 0xbbc42fb7, v41 op_sel_hi:[1,0]
	v_pk_mul_f16 v35, 0xbb7bbbf1, v18
	v_pk_add_f16 v3, v28, v3 neg_lo:[0,1] neg_hi:[0,1]
	v_pk_add_f16 v17, v13, v17
	v_pack_b32_f16 v27, v42, v42
	v_pack_b32_f16 v32, v40, v40
	;; [unrolled: 1-line block ×3, first 2 shown]
	v_pk_mul_f16 v34, 0xb9fdb5ac, v34 op_sel_hi:[1,0]
	v_pk_fma_f16 v28, 0xb5ac2fb7, v1, v35
	v_pk_mul_f16 v36, 0x394eb3a8, v26
	v_pk_add_f16 v3, v17, v3
	v_pk_add_f16 v12, v30, v12 neg_lo:[0,1] neg_hi:[0,1]
	v_pack_b32_f16 v29, v41, v41
	v_pack_b32_f16 v21, v25, v25
	;; [unrolled: 1-line block ×3, first 2 shown]
	v_pk_mul_f16 v24, 0x2fb7b9fd, v24 op_sel_hi:[1,0]
	v_pk_add_f16 v17, v13, v28
	v_pk_fma_f16 v28, 0xb9fdbbc4, v27, v36
	v_pk_mul_f16 v30, 0x37703b7b, v32
	v_pk_add_f16 v3, v3, v12
	v_pk_add_f16 v12, v34, v14 neg_lo:[0,1] neg_hi:[0,1]
	v_pack_b32_f16 v22, v22, v22
	v_pack_b32_f16 v37, v20, v20
	v_pk_mul_f16 v20, 0x3b15bbc4, v20 op_sel_hi:[1,0]
	v_pk_add_f16 v14, v17, v28
	v_pk_fma_f16 v17, 0x3b15b5ac, v29, v30
	v_pk_mul_f16 v28, 0xbbf13770, v21
	v_pk_add_f16 v3, v3, v12
	v_pk_add_f16 v12, v24, v15 neg_lo:[0,1] neg_hi:[0,1]
	v_pk_fma_f16 v24, 0xb5ac2fb7, v1, v35 neg_lo:[0,0,1] neg_hi:[0,0,1]
	v_pk_add_f16 v14, v14, v17
	v_pk_fma_f16 v15, 0x2fb73b15, v33, v28
	v_pk_mul_f16 v17, 0x33a8ba95, v22
	v_pk_add_f16 v3, v3, v12
	v_pk_add_f16 v2, v20, v2 neg_lo:[0,1] neg_hi:[0,1]
	v_pk_fma_f16 v20, 0xb9fdbbc4, v27, v36 neg_lo:[0,0,1] neg_hi:[0,0,1]
	v_pk_add_f16 v12, v14, v15
	v_pk_fma_f16 v14, 0xbbc4388b, v25, v17
	v_pk_add_f16 v15, v13, v24
	v_pk_add_f16 v24, v3, v2
	v_pk_mul_f16 v2, 0xb3a8b94e, v18
	v_pk_mul_f16 v21, 0x3a9533a8, v21
	v_pk_add_f16 v3, v12, v14
	v_pk_add_f16 v14, v15, v20
	v_pk_fma_f16 v15, 0x3b15b5ac, v29, v30 neg_lo:[0,0,1] neg_hi:[0,0,1]
	v_pk_fma_f16 v18, 0xbbc4b9fd, v1, v2 neg_lo:[0,0,1] neg_hi:[0,0,1]
	v_pk_mul_f16 v20, 0x37703bf1, v26
	v_pk_fma_f16 v1, 0xbbc4b9fd, v1, v2
	v_pack_b32_f16 v16, v16, v16
	v_pk_add_f16 v2, v14, v15
	v_pk_add_f16 v14, v13, v18
	v_pk_fma_f16 v15, 0x3b152fb7, v27, v20 neg_lo:[0,0,1] neg_hi:[0,0,1]
	v_pk_mul_f16 v18, 0xb94eba95, v32
	v_pk_add_f16 v1, v13, v1
	v_pk_fma_f16 v13, 0x3b152fb7, v27, v20
	v_pk_fma_f16 v20, 0x2fb73b15, v33, v28 neg_lo:[0,0,1] neg_hi:[0,0,1]
	v_pk_add_f16 v14, v14, v15
	v_pk_fma_f16 v15, 0xb9fd388b, v29, v18 neg_lo:[0,0,1] neg_hi:[0,0,1]
	v_pk_mul_f16 v12, 0x3a95b94e, v16
	v_pk_add_f16 v1, v1, v13
	v_pk_fma_f16 v13, 0xb9fd388b, v29, v18
	v_pk_mul_f16 v18, 0xbb7b3770, v22
	v_pk_add_f16 v14, v14, v15
	v_pk_fma_f16 v15, 0x388bbbc4, v33, v21 neg_lo:[0,0,1] neg_hi:[0,0,1]
	v_pk_mul_f16 v16, 0x3bf1bb7b, v16
	v_pk_add_f16 v1, v1, v13
	v_pk_fma_f16 v13, 0x388bbbc4, v33, v21
	v_pk_add_f16 v2, v2, v20
	v_pk_add_f16 v14, v14, v15
	v_pk_fma_f16 v15, 0xb5ac3b15, v25, v18 neg_lo:[0,0,1] neg_hi:[0,0,1]
	v_pk_fma_f16 v17, 0xbbc4388b, v25, v17 neg_lo:[0,0,1] neg_hi:[0,0,1]
	v_pk_add_f16 v1, v1, v13
	v_pk_fma_f16 v13, 0xb5ac3b15, v25, v18
	v_pk_fma_f16 v26, 0x388bb9fd, v37, v12
	v_pk_add_f16 v14, v14, v15
	v_pk_fma_f16 v15, 0x2fb7b5ac, v37, v16 neg_lo:[0,0,1] neg_hi:[0,0,1]
	v_pk_add_f16 v2, v2, v17
	v_pk_fma_f16 v12, 0x388bb9fd, v37, v12 neg_lo:[0,0,1] neg_hi:[0,0,1]
	v_mul_u32_u24_e32 v17, 26, v10
	v_pk_add_f16 v13, v1, v13
	v_pk_fma_f16 v16, 0x2fb7b5ac, v37, v16
	v_pk_add_f16 v14, v14, v15
	v_pk_add_f16 v12, v2, v12
	v_add3_u32 v15, 0, v17, v46
	v_pk_add_f16 v1, v3, v26
	v_pk_add_f16 v2, v13, v16
	v_alignbit_b32 v3, v14, v14, 16
	v_alignbit_b32 v12, v12, v12, 16
	;; [unrolled: 1-line block ×3, first 2 shown]
	ds_store_b16 v15, v11
	ds_store_b128 v15, v[0:3] offset:2
	ds_store_b64 v15, v[12:13] offset:18
.LBB0_18:
	s_wait_alu 0xfffe
	s_or_b32 exec_lo, exec_lo, s2
	global_wb scope:SCOPE_SE
	s_wait_dscnt 0x0
	s_barrier_signal -1
	s_barrier_wait -1
	global_inv scope:SCOPE_SE
	ds_load_u16 v12, v8
	ds_load_u16 v13, v9 offset:78
	ds_load_u16 v14, v9 offset:156
	;; [unrolled: 1-line block ×11, first 2 shown]
	s_and_saveexec_b32 s1, s0
	s_cbranch_execz .LBB0_20
; %bb.19:
	ds_load_u16 v5, v9 offset:312
	ds_load_u16 v11, v9 offset:676
	;; [unrolled: 1-line block ×3, first 2 shown]
.LBB0_20:
	s_wait_alu 0xfffe
	s_or_b32 exec_lo, exec_lo, s1
	v_and_b32_e32 v1, 0xff, v4
	v_and_b32_e32 v2, 0xff, v10
	s_delay_alu instid0(VALU_DEP_2) | instskip(SKIP_1) | instid1(VALU_DEP_3)
	v_mul_lo_u16 v3, 0x4f, v1
	v_add_nc_u32_e32 v1, 0x4e, v4
	v_mul_lo_u16 v26, 0x4f, v2
	v_add_nc_u32_e32 v2, 0x75, v4
	s_delay_alu instid0(VALU_DEP_4) | instskip(SKIP_2) | instid1(VALU_DEP_4)
	v_lshrrev_b16 v27, 10, v3
	v_add_nc_u32_e32 v3, 0x9c, v4
	v_and_b32_e32 v28, 0xff, v1
	v_and_b32_e32 v29, 0xff, v2
	v_lshrrev_b16 v26, 10, v26
	v_mul_lo_u16 v30, v27, 13
	v_and_b32_e32 v32, 0xff, v3
	v_mul_lo_u16 v28, 0x4f, v28
	v_mul_lo_u16 v29, 0x4f, v29
	;; [unrolled: 1-line block ×3, first 2 shown]
	v_sub_nc_u16 v30, v4, v30
	v_mul_lo_u16 v32, 0x4f, v32
	v_lshrrev_b16 v28, 10, v28
	v_lshrrev_b16 v29, 10, v29
	v_sub_nc_u16 v33, v10, v33
	v_and_b32_e32 v30, 0xff, v30
	v_lshrrev_b16 v32, 10, v32
	v_mul_lo_u16 v34, v28, 13
	v_mul_lo_u16 v35, v29, 13
	v_and_b32_e32 v33, 0xff, v33
	v_lshlrev_b32_e32 v36, 3, v30
	v_mul_lo_u16 v37, v32, 13
	v_sub_nc_u16 v34, v1, v34
	v_sub_nc_u16 v39, v2, v35
	v_lshlrev_b32_e32 v38, 3, v33
	global_load_b64 v[35:36], v36, s[4:5]
	v_sub_nc_u16 v40, v3, v37
	v_and_b32_e32 v34, 0xff, v34
	v_and_b32_e32 v39, 0xff, v39
	global_load_b64 v[37:38], v38, s[4:5]
	v_and_b32_e32 v27, 0xffff, v27
	v_and_b32_e32 v40, 0xff, v40
	v_lshlrev_b32_e32 v41, 3, v34
	v_lshlrev_b32_e32 v42, 3, v39
	v_and_b32_e32 v26, 0xffff, v26
	v_and_b32_e32 v29, 0xffff, v29
	v_lshlrev_b32_e32 v43, 3, v40
	v_mad_u32_u24 v27, 0x4e, v27, 0
	s_clause 0x2
	global_load_b64 v[47:48], v41, s[4:5]
	global_load_b64 v[49:50], v42, s[4:5]
	;; [unrolled: 1-line block ×3, first 2 shown]
	v_and_b32_e32 v41, 0xffff, v28
	v_mad_u32_u24 v26, 0x4e, v26, 0
	v_lshlrev_b32_e32 v30, 1, v30
	v_lshlrev_b32_e32 v33, 1, v33
	v_mad_u32_u24 v42, 0x4e, v29, 0
	v_lshlrev_b32_e32 v39, 1, v39
	v_and_b32_e32 v28, 0xffff, v32
	v_mad_u32_u24 v41, 0x4e, v41, 0
	v_lshlrev_b32_e32 v34, 1, v34
	v_add3_u32 v32, v27, v30, v46
	v_add3_u32 v30, v26, v33, v46
	v_lshlrev_b32_e32 v29, 1, v40
	v_add3_u32 v33, v42, v39, v46
	v_add3_u32 v34, v41, v34, v46
	global_wb scope:SCOPE_SE
	s_wait_loadcnt_dscnt 0x0
	s_barrier_signal -1
	s_barrier_wait -1
	global_inv scope:SCOPE_SE
	v_lshrrev_b32_e32 v26, 16, v35
	v_lshrrev_b32_e32 v27, 16, v36
	;; [unrolled: 1-line block ×4, first 2 shown]
	s_delay_alu instid0(VALU_DEP_4)
	v_mul_f16_e32 v42, v24, v26
	v_mul_f16_e32 v41, v70, v26
	;; [unrolled: 1-line block ×8, first 2 shown]
	v_lshrrev_b32_e32 v40, 16, v47
	v_lshrrev_b32_e32 v58, 16, v48
	;; [unrolled: 1-line block ×6, first 2 shown]
	v_fmac_f16_e32 v41, v24, v35
	v_fma_f16 v45, v71, v36, -v43
	v_fmac_f16_e32 v27, v25, v36
	v_fma_f16 v24, v68, v37, -v53
	;; [unrolled: 2-line block ×3, first 2 shown]
	v_fmac_f16_e32 v26, v22, v38
	v_mul_f16_e32 v37, v17, v40
	v_mul_f16_e32 v40, v65, v40
	;; [unrolled: 1-line block ×7, first 2 shown]
	v_fma_f16 v44, v70, v35, -v42
	v_mul_f16_e32 v36, v31, v62
	v_mul_f16_e32 v38, v66, v61
	;; [unrolled: 1-line block ×4, first 2 shown]
	v_fma_f16 v42, v65, v47, -v37
	v_fmac_f16_e32 v40, v17, v47
	v_fma_f16 v43, v67, v48, -v43
	v_fmac_f16_e32 v22, v20, v48
	;; [unrolled: 2-line block ×3, first 2 shown]
	v_fma_f16 v16, v66, v50, -v54
	v_add_f16_e32 v20, v24, v25
	v_mul_f16_e32 v58, v11, v62
	v_fmac_f16_e32 v36, v11, v51
	v_add_f16_e32 v11, v44, v45
	v_fmac_f16_e32 v38, v18, v50
	v_fma_f16 v37, v19, v52, -v60
	v_fmac_f16_e32 v35, v0, v52
	v_add_f16_e32 v0, v55, v44
	v_add_f16_e32 v19, v56, v24
	v_fmac_f16_e32 v56, -0.5, v20
	v_add_f16_e32 v20, v42, v43
	v_add_f16_e32 v50, v17, v16
	v_sub_f16_e32 v18, v41, v27
	v_fmac_f16_e32 v55, -0.5, v11
	v_sub_f16_e32 v47, v39, v26
	v_fma_f16 v31, v31, v51, -v58
	v_add_f16_e32 v0, v0, v45
	v_add_f16_e32 v11, v19, v25
	;; [unrolled: 1-line block ×3, first 2 shown]
	v_sub_f16_e32 v48, v40, v22
	v_add_f16_e32 v49, v59, v17
	v_sub_f16_e32 v51, v21, v38
	v_fmac_f16_e32 v57, -0.5, v20
	v_fmac_f16_e32 v59, -0.5, v50
	v_fmamk_f16 v52, v18, 0x3aee, v55
	v_fmac_f16_e32 v55, 0xbaee, v18
	v_fmamk_f16 v18, v47, 0x3aee, v56
	v_fmac_f16_e32 v56, 0xbaee, v47
	v_add_f16_e32 v19, v19, v43
	v_add_f16_e32 v20, v49, v16
	v_fmamk_f16 v47, v48, 0x3aee, v57
	v_fmac_f16_e32 v57, 0xbaee, v48
	v_fmamk_f16 v48, v51, 0x3aee, v59
	v_fmac_f16_e32 v59, 0xbaee, v51
	ds_store_b16 v32, v0
	ds_store_b16 v32, v52 offset:26
	ds_store_b16 v32, v55 offset:52
	ds_store_b16 v30, v11
	ds_store_b16 v30, v18 offset:26
	ds_store_b16 v30, v56 offset:52
	;; [unrolled: 3-line block ×4, first 2 shown]
	s_and_saveexec_b32 s1, s0
	s_cbranch_execz .LBB0_22
; %bb.21:
	v_add_f16_e32 v0, v31, v37
	v_add_f16_e32 v18, v23, v31
	v_mad_u32_u24 v19, 0x4e, v28, 0
	v_sub_f16_e32 v11, v36, v35
	s_delay_alu instid0(VALU_DEP_4) | instskip(NEXT) | instid1(VALU_DEP_4)
	v_fma_f16 v0, -0.5, v0, v23
	v_add_f16_e32 v18, v18, v37
	s_delay_alu instid0(VALU_DEP_4) | instskip(NEXT) | instid1(VALU_DEP_3)
	v_add3_u32 v19, v19, v29, v46
	v_fmamk_f16 v20, v11, 0xbaee, v0
	v_fmac_f16_e32 v0, 0x3aee, v11
	ds_store_b16 v19, v18
	ds_store_b16 v19, v0 offset:26
	ds_store_b16 v19, v20 offset:52
.LBB0_22:
	s_wait_alu 0xfffe
	s_or_b32 exec_lo, exec_lo, s1
	v_add_f16_e32 v0, v41, v27
	v_add_f16_e32 v11, v12, v41
	;; [unrolled: 1-line block ×3, first 2 shown]
	v_sub_f16_e32 v18, v44, v45
	v_add_f16_e32 v20, v40, v22
	v_fmac_f16_e32 v12, -0.5, v0
	v_add_f16_e32 v0, v13, v39
	v_add_f16_e32 v39, v11, v27
	v_fmac_f16_e32 v13, -0.5, v19
	v_sub_f16_e32 v11, v24, v25
	v_fmamk_f16 v41, v18, 0xbaee, v12
	v_fmac_f16_e32 v12, 0x3aee, v18
	v_add_f16_e32 v44, v0, v26
	v_add_f16_e32 v0, v14, v40
	v_fmac_f16_e32 v14, -0.5, v20
	v_sub_f16_e32 v18, v42, v43
	v_fmamk_f16 v40, v11, 0xbaee, v13
	v_fmac_f16_e32 v13, 0x3aee, v11
	v_add_f16_e32 v11, v21, v38
	v_add_f16_e32 v42, v0, v22
	v_fmamk_f16 v43, v18, 0xbaee, v14
	v_fmac_f16_e32 v14, 0x3aee, v18
	v_add_f16_e32 v45, v15, v21
	v_fmac_f16_e32 v15, -0.5, v11
	v_sub_f16_e32 v47, v17, v16
	global_wb scope:SCOPE_SE
	s_wait_dscnt 0x0
	s_barrier_signal -1
	s_barrier_wait -1
	global_inv scope:SCOPE_SE
	ds_load_u16 v0, v8
	ds_load_u16 v18, v9 offset:624
	ds_load_u16 v16, v9 offset:546
	;; [unrolled: 1-line block ×13, first 2 shown]
	v_add_f16_e32 v38, v45, v38
	v_fmamk_f16 v45, v47, 0xbaee, v15
	v_fmac_f16_e32 v15, 0x3aee, v47
	global_wb scope:SCOPE_SE
	s_wait_dscnt 0x0
	s_barrier_signal -1
	s_barrier_wait -1
	global_inv scope:SCOPE_SE
	ds_store_b16 v32, v39
	ds_store_b16 v32, v41 offset:26
	ds_store_b16 v32, v12 offset:52
	ds_store_b16 v30, v44
	ds_store_b16 v30, v40 offset:26
	ds_store_b16 v30, v13 offset:52
	;; [unrolled: 3-line block ×4, first 2 shown]
	s_and_saveexec_b32 s1, s0
	s_cbranch_execz .LBB0_24
; %bb.23:
	v_add_f16_e32 v12, v36, v35
	v_add_f16_e32 v13, v5, v36
	v_mad_u32_u24 v15, 0x4e, v28, 0
	v_sub_f16_e32 v14, v31, v37
	s_delay_alu instid0(VALU_DEP_4) | instskip(NEXT) | instid1(VALU_DEP_4)
	v_fmac_f16_e32 v5, -0.5, v12
	v_add_f16_e32 v12, v13, v35
	s_delay_alu instid0(VALU_DEP_4) | instskip(NEXT) | instid1(VALU_DEP_3)
	v_add3_u32 v13, v15, v29, v46
	v_fmamk_f16 v15, v14, 0xbaee, v5
	v_fmac_f16_e32 v5, 0x3aee, v14
	ds_store_b16 v13, v12
	ds_store_b16 v13, v15 offset:26
	ds_store_b16 v13, v5 offset:52
.LBB0_24:
	s_wait_alu 0xfffe
	s_or_b32 exec_lo, exec_lo, s1
	v_mul_u32_u24_e32 v5, 6, v4
	global_wb scope:SCOPE_SE
	s_wait_dscnt 0x0
	s_barrier_signal -1
	s_barrier_wait -1
	global_inv scope:SCOPE_SE
	v_lshlrev_b32_e32 v5, 2, v5
	s_clause 0x1
	global_load_b128 v[12:15], v5, s[4:5] offset:104
	global_load_b64 v[28:29], v5, s[4:5] offset:120
	ds_load_u16 v5, v8
	ds_load_u16 v30, v9 offset:156
	ds_load_u16 v31, v9 offset:624
	;; [unrolled: 1-line block ×13, first 2 shown]
	global_wb scope:SCOPE_SE
	s_wait_loadcnt_dscnt 0x0
	s_barrier_signal -1
	s_barrier_wait -1
	global_inv scope:SCOPE_SE
	v_lshrrev_b32_e32 v43, 16, v12
	v_lshrrev_b32_e32 v44, 16, v13
	;; [unrolled: 1-line block ×6, first 2 shown]
	v_mul_f16_e32 v49, v30, v43
	v_mul_f16_e32 v51, v35, v44
	;; [unrolled: 1-line block ×24, first 2 shown]
	v_fma_f16 v27, v27, v12, -v49
	v_fma_f16 v25, v25, v13, -v51
	;; [unrolled: 1-line block ×4, first 2 shown]
	v_fmac_f16_e32 v50, v30, v12
	v_fmac_f16_e32 v52, v35, v13
	v_fma_f16 v23, v23, v14, -v53
	v_fmac_f16_e32 v54, v33, v14
	v_fma_f16 v18, v18, v15, -v55
	v_fmac_f16_e32 v56, v31, v15
	v_fmac_f16_e32 v58, v41, v28
	;; [unrolled: 1-line block ×3, first 2 shown]
	v_fma_f16 v21, v21, v12, -v61
	v_fmac_f16_e32 v43, v36, v12
	v_fma_f16 v12, v19, v13, -v62
	v_fmac_f16_e32 v44, v34, v13
	;; [unrolled: 2-line block ×6, first 2 shown]
	v_add_f16_e32 v17, v27, v24
	v_sub_f16_e32 v20, v27, v24
	v_add_f16_e32 v24, v25, v26
	v_add_f16_e32 v19, v50, v60
	v_sub_f16_e32 v22, v50, v60
	v_add_f16_e32 v27, v52, v58
	v_sub_f16_e32 v25, v25, v26
	v_sub_f16_e32 v26, v52, v58
	v_add_f16_e32 v28, v23, v18
	v_add_f16_e32 v29, v54, v56
	v_sub_f16_e32 v18, v18, v23
	v_sub_f16_e32 v23, v56, v54
	v_add_f16_e32 v30, v21, v16
	v_add_f16_e32 v31, v43, v48
	;; [unrolled: 1-line block ×4, first 2 shown]
	v_sub_f16_e32 v16, v21, v16
	v_sub_f16_e32 v12, v12, v15
	v_add_f16_e32 v34, v13, v14
	v_sub_f16_e32 v13, v14, v13
	v_add_f16_e32 v36, v24, v17
	v_sub_f16_e32 v21, v43, v48
	v_sub_f16_e32 v15, v44, v47
	v_add_f16_e32 v35, v45, v46
	v_sub_f16_e32 v14, v46, v45
	v_add_f16_e32 v38, v27, v19
	v_sub_f16_e32 v39, v24, v17
	v_sub_f16_e32 v40, v27, v19
	;; [unrolled: 1-line block ×6, first 2 shown]
	v_add_f16_e32 v41, v18, v25
	v_add_f16_e32 v42, v23, v26
	v_sub_f16_e32 v43, v18, v25
	v_sub_f16_e32 v44, v23, v26
	;; [unrolled: 1-line block ×4, first 2 shown]
	v_add_f16_e32 v45, v32, v30
	v_add_f16_e32 v46, v33, v31
	;; [unrolled: 1-line block ×3, first 2 shown]
	v_sub_f16_e32 v51, v13, v12
	v_sub_f16_e32 v12, v12, v16
	v_add_f16_e32 v28, v28, v36
	v_sub_f16_e32 v18, v20, v18
	v_sub_f16_e32 v23, v22, v23
	;; [unrolled: 1-line block ×8, first 2 shown]
	v_add_f16_e32 v50, v14, v15
	v_sub_f16_e32 v52, v14, v15
	v_sub_f16_e32 v15, v15, v21
	v_add_f16_e32 v29, v29, v38
	v_add_f16_e32 v20, v41, v20
	;; [unrolled: 1-line block ×3, first 2 shown]
	v_mul_f16_e32 v17, 0x3a52, v17
	v_mul_f16_e32 v19, 0x3a52, v19
	;; [unrolled: 1-line block ×8, first 2 shown]
	v_add_f16_e32 v34, v34, v45
	v_add_f16_e32 v35, v35, v46
	v_sub_f16_e32 v13, v16, v13
	v_add_f16_e32 v16, v49, v16
	v_mul_f16_e32 v49, 0xb846, v51
	v_mul_f16_e32 v51, 0x3b00, v12
	v_add_f16_e32 v0, v0, v28
	v_sub_f16_e32 v14, v21, v14
	v_add_f16_e32 v21, v50, v21
	v_mul_f16_e32 v30, 0x3a52, v30
	v_mul_f16_e32 v31, 0x3a52, v31
	;; [unrolled: 1-line block ×6, first 2 shown]
	v_add_f16_e32 v5, v5, v29
	v_fmamk_f16 v24, v24, 0x2b26, v17
	v_fmamk_f16 v27, v27, 0x2b26, v19
	v_fma_f16 v36, v39, 0x39e0, -v36
	v_fma_f16 v38, v40, 0x39e0, -v38
	;; [unrolled: 1-line block ×4, first 2 shown]
	v_fmamk_f16 v39, v18, 0x3574, v41
	v_fmamk_f16 v40, v23, 0x3574, v42
	v_fma_f16 v25, v25, 0x3b00, -v41
	v_fma_f16 v26, v26, 0x3b00, -v42
	;; [unrolled: 1-line block ×4, first 2 shown]
	v_add_f16_e32 v11, v11, v34
	v_add_f16_e32 v37, v37, v35
	v_fmamk_f16 v43, v13, 0x3574, v49
	v_fma_f16 v12, v12, 0x3b00, -v49
	v_fma_f16 v13, v13, 0xb574, -v51
	v_fmamk_f16 v28, v28, 0xbcab, v0
	v_fmamk_f16 v32, v32, 0x2b26, v30
	;; [unrolled: 1-line block ×3, first 2 shown]
	v_fma_f16 v41, v47, 0x39e0, -v45
	v_fma_f16 v42, v48, 0x39e0, -v46
	;; [unrolled: 1-line block ×4, first 2 shown]
	v_fmamk_f16 v44, v14, 0x3574, v50
	v_fma_f16 v15, v15, 0x3b00, -v50
	v_fma_f16 v14, v14, 0xb574, -v52
	v_fmamk_f16 v29, v29, 0xbcab, v5
	v_fmac_f16_e32 v39, 0x370e, v20
	v_fmac_f16_e32 v40, 0x370e, v22
	;; [unrolled: 1-line block ×6, first 2 shown]
	v_fmamk_f16 v20, v34, 0xbcab, v11
	v_fmamk_f16 v22, v35, 0xbcab, v37
	v_fmac_f16_e32 v43, 0x370e, v16
	v_fmac_f16_e32 v12, 0x370e, v16
	;; [unrolled: 1-line block ×3, first 2 shown]
	v_add_f16_e32 v16, v24, v28
	v_add_f16_e32 v17, v17, v28
	;; [unrolled: 1-line block ×3, first 2 shown]
	v_fmac_f16_e32 v44, 0x370e, v21
	v_fmac_f16_e32 v15, 0x370e, v21
	;; [unrolled: 1-line block ×3, first 2 shown]
	v_add_f16_e32 v21, v27, v29
	v_add_f16_e32 v27, v38, v29
	;; [unrolled: 1-line block ×11, first 2 shown]
	v_sub_f16_e32 v36, v24, v26
	v_sub_f16_e32 v31, v21, v39
	v_sub_f16_e32 v35, v19, v18
	v_add_f16_e32 v38, v25, v27
	v_add_f16_e32 v24, v26, v24
	v_sub_f16_e32 v25, v27, v25
	v_sub_f16_e32 v17, v17, v23
	v_add_f16_e32 v26, v18, v19
	v_sub_f16_e32 v16, v16, v40
	v_add_f16_e32 v27, v39, v21
	v_add_f16_e32 v18, v44, v28
	;; [unrolled: 1-line block ×3, first 2 shown]
	v_sub_f16_e32 v40, v22, v13
	v_sub_f16_e32 v21, v32, v15
	v_add_f16_e32 v41, v12, v33
	v_add_f16_e32 v15, v15, v32
	v_sub_f16_e32 v32, v33, v12
	v_sub_f16_e32 v12, v20, v14
	v_add_f16_e32 v33, v13, v22
	v_sub_f16_e32 v13, v28, v44
	ds_store_b16 v9, v0
	ds_store_b16 v9, v30 offset:78
	ds_store_b16 v9, v34 offset:156
	;; [unrolled: 1-line block ×13, first 2 shown]
	global_wb scope:SCOPE_SE
	s_wait_dscnt 0x0
	s_barrier_signal -1
	s_barrier_wait -1
	global_inv scope:SCOPE_SE
	ds_load_u16 v0, v8
	ds_load_u16 v11, v9 offset:78
	ds_load_u16 v12, v9 offset:156
	;; [unrolled: 1-line block ×13, first 2 shown]
	v_sub_f16_e32 v39, v29, v43
	v_add_f16_e32 v28, v43, v29
	global_wb scope:SCOPE_SE
	s_wait_dscnt 0x0
	s_barrier_signal -1
	s_barrier_wait -1
	global_inv scope:SCOPE_SE
	ds_store_b16 v9, v5
	ds_store_b16 v9, v31 offset:78
	ds_store_b16 v9, v35 offset:156
	ds_store_b16 v9, v38 offset:234
	ds_store_b16 v9, v25 offset:312
	ds_store_b16 v9, v26 offset:390
	ds_store_b16 v9, v27 offset:468
	ds_store_b16 v9, v37 offset:546
	ds_store_b16 v9, v39 offset:624
	ds_store_b16 v9, v40 offset:702
	ds_store_b16 v9, v41 offset:780
	ds_store_b16 v9, v32 offset:858
	ds_store_b16 v9, v33 offset:936
	ds_store_b16 v9, v28 offset:1014
	global_wb scope:SCOPE_SE
	s_wait_dscnt 0x0
	s_barrier_signal -1
	s_barrier_wait -1
	global_inv scope:SCOPE_SE
	s_and_saveexec_b32 s0, vcc_lo
	s_cbranch_execz .LBB0_26
; %bb.25:
	v_dual_mov_b32 v5, 0 :: v_dual_add_nc_u32 v46, 0x138, v4
	v_mad_co_u64_u32 v[26:27], null, s8, v2, 0
	v_add_nc_u32_e32 v71, 0x186, v4
	s_delay_alu instid0(VALU_DEP_3) | instskip(SKIP_2) | instid1(VALU_DEP_4)
	v_lshlrev_b64_e32 v[24:25], 2, v[4:5]
	v_add_nc_u32_e32 v45, 0x111, v4
	v_mad_co_u64_u32 v[28:29], null, s8, v3, 0
	v_mad_co_u64_u32 v[36:37], null, s8, v71, 0
	s_delay_alu instid0(VALU_DEP_4)
	v_add_co_u32 v24, vcc_lo, s4, v24
	s_wait_alu 0xfffd
	v_add_co_ci_u32_e32 v25, vcc_lo, s5, v25, vcc_lo
	v_add_co_u32 v69, vcc_lo, s10, v6
	s_wait_alu 0xfffd
	v_add_co_ci_u32_e32 v70, vcc_lo, s11, v7, vcc_lo
	s_clause 0x6
	global_load_b32 v48, v[24:25], off offset:1976
	global_load_b32 v49, v[24:25], off offset:1820
	;; [unrolled: 1-line block ×7, first 2 shown]
	ds_load_u16 v55, v9 offset:1014
	ds_load_u16 v56, v9 offset:936
	ds_load_u16 v57, v9 offset:858
	ds_load_u16 v58, v9 offset:780
	ds_load_u16 v59, v9 offset:702
	ds_load_u16 v60, v9 offset:624
	ds_load_u16 v61, v9 offset:546
	ds_load_u16 v62, v9 offset:468
	ds_load_u16 v63, v9 offset:390
	ds_load_u16 v64, v9 offset:312
	ds_load_u16 v65, v9 offset:234
	ds_load_u16 v66, v9 offset:156
	ds_load_u16 v67, v9 offset:78
	ds_load_u16 v68, v8
	v_mad_co_u64_u32 v[8:9], null, s8, v4, 0
	v_mad_co_u64_u32 v[24:25], null, s8, v1, 0
	v_add_nc_u32_e32 v72, 0x1ad, v4
	v_add_nc_u32_e32 v74, 0xea, v4
	;; [unrolled: 1-line block ×4, first 2 shown]
	v_mov_b32_e32 v7, v9
	v_mad_co_u64_u32 v[5:6], null, s8, v10, 0
	v_mov_b32_e32 v9, v25
	v_mov_b32_e32 v25, v27
	v_mad_co_u64_u32 v[30:31], null, s8, v45, 0
	v_mad_co_u64_u32 v[40:41], null, s9, v4, v[7:8]
	;; [unrolled: 1-line block ×6, first 2 shown]
	v_mov_b32_e32 v2, v37
	v_mad_co_u64_u32 v[34:35], null, s8, v47, 0
	v_mul_hi_u32 v75, 0xe01e01e1, v73
	v_mov_b32_e32 v27, v29
	v_mul_hi_u32 v76, 0xe01e01e1, v74
	v_mov_b32_e32 v4, v31
	v_mad_co_u64_u32 v[6:7], null, s9, v10, v[6:7]
	v_mov_b32_e32 v7, v33
	v_mov_b32_e32 v1, v35
	v_mad_co_u64_u32 v[43:44], null, s9, v3, v[27:28]
	v_mov_b32_e32 v3, v39
	v_sub_nc_u32_e32 v9, v73, v75
	v_mad_co_u64_u32 v[44:45], null, s9, v45, v[4:5]
	v_mad_co_u64_u32 v[45:46], null, s9, v46, v[7:8]
	v_sub_nc_u32_e32 v10, v74, v76
	v_mad_co_u64_u32 v[46:47], null, s9, v47, v[1:2]
	v_mad_co_u64_u32 v[1:2], null, s9, v71, v[2:3]
	;; [unrolled: 1-line block ×3, first 2 shown]
	v_lshrrev_b32_e32 v3, 1, v9
	v_lshrrev_b32_e32 v4, 1, v10
	v_mov_b32_e32 v9, v40
	v_mov_b32_e32 v25, v41
	s_delay_alu instid0(VALU_DEP_4) | instskip(NEXT) | instid1(VALU_DEP_4)
	v_dual_mov_b32 v27, v42 :: v_dual_add_nc_u32 v40, v3, v75
	v_add_nc_u32_e32 v41, v4, v76
	s_delay_alu instid0(VALU_DEP_4)
	v_lshlrev_b64_e32 v[3:4], 2, v[8:9]
	v_mov_b32_e32 v31, v44
	v_lshlrev_b64_e32 v[5:6], 2, v[5:6]
	v_lshrrev_b32_e32 v40, 8, v40
	v_lshrrev_b32_e32 v41, 8, v41
	v_mov_b32_e32 v29, v43
	v_mov_b32_e32 v35, v46
	;; [unrolled: 1-line block ×3, first 2 shown]
	v_mad_u32_u24 v42, 0x111, v40, v73
	v_mad_u32_u24 v44, 0x111, v41, v74
	v_mov_b32_e32 v33, v45
	v_mov_b32_e32 v39, v2
	v_lshlrev_b64_e32 v[7:8], 2, v[24:25]
	v_add_nc_u32_e32 v45, 0x111, v42
	v_add_co_u32 v3, vcc_lo, v69, v3
	s_wait_alu 0xfffd
	v_add_co_ci_u32_e32 v4, vcc_lo, v70, v4, vcc_lo
	v_add_nc_u32_e32 v46, 0x111, v44
	v_lshlrev_b64_e32 v[9:10], 2, v[26:27]
	v_lshlrev_b64_e32 v[24:25], 2, v[28:29]
	v_lshlrev_b64_e32 v[1:2], 2, v[30:31]
	v_lshlrev_b64_e32 v[28:29], 2, v[34:35]
	v_lshlrev_b64_e32 v[30:31], 2, v[36:37]
	v_add_co_u32 v5, vcc_lo, v69, v5
	v_mad_co_u64_u32 v[34:35], null, s8, v42, 0
	v_mad_co_u64_u32 v[36:37], null, s8, v44, 0
	v_lshlrev_b64_e32 v[26:27], 2, v[32:33]
	v_lshlrev_b64_e32 v[32:33], 2, v[38:39]
	v_mad_co_u64_u32 v[38:39], null, s8, v45, 0
	s_wait_alu 0xfffd
	v_add_co_ci_u32_e32 v6, vcc_lo, v70, v6, vcc_lo
	v_add_co_u32 v7, vcc_lo, v69, v7
	v_mad_co_u64_u32 v[40:41], null, s8, v46, 0
	s_wait_alu 0xfffd
	v_add_co_ci_u32_e32 v8, vcc_lo, v70, v8, vcc_lo
	v_add_co_u32 v9, vcc_lo, v69, v9
	s_wait_alu 0xfffd
	v_add_co_ci_u32_e32 v10, vcc_lo, v70, v10, vcc_lo
	v_mad_co_u64_u32 v[42:43], null, s9, v42, v[35:36]
	v_add_co_u32 v24, vcc_lo, v69, v24
	v_mov_b32_e32 v35, v39
	s_wait_alu 0xfffd
	v_add_co_ci_u32_e32 v25, vcc_lo, v70, v25, vcc_lo
	v_mad_co_u64_u32 v[43:44], null, s9, v44, v[37:38]
	v_add_co_u32 v1, vcc_lo, v69, v1
	v_mov_b32_e32 v39, v41
	;; [unrolled: 5-line block ×4, first 2 shown]
	s_wait_alu 0xfffd
	v_add_co_ci_u32_e32 v29, vcc_lo, v70, v29, vcc_lo
	v_add_co_u32 v30, vcc_lo, v69, v30
	v_lshlrev_b64_e32 v[34:35], 2, v[34:35]
	v_mov_b32_e32 v39, v44
	s_wait_alu 0xfffd
	v_add_co_ci_u32_e32 v31, vcc_lo, v70, v31, vcc_lo
	v_add_co_u32 v32, vcc_lo, v69, v32
	v_lshlrev_b64_e32 v[36:37], 2, v[36:37]
	v_mov_b32_e32 v41, v45
	s_wait_alu 0xfffd
	v_add_co_ci_u32_e32 v33, vcc_lo, v70, v33, vcc_lo
	v_lshlrev_b64_e32 v[38:39], 2, v[38:39]
	v_add_co_u32 v34, vcc_lo, v69, v34
	s_wait_alu 0xfffd
	v_add_co_ci_u32_e32 v35, vcc_lo, v70, v35, vcc_lo
	v_lshlrev_b64_e32 v[40:41], 2, v[40:41]
	v_add_co_u32 v36, vcc_lo, v69, v36
	s_wait_alu 0xfffd
	v_add_co_ci_u32_e32 v37, vcc_lo, v70, v37, vcc_lo
	v_add_co_u32 v38, vcc_lo, v69, v38
	s_wait_alu 0xfffd
	v_add_co_ci_u32_e32 v39, vcc_lo, v70, v39, vcc_lo
	;; [unrolled: 3-line block ×3, first 2 shown]
	s_wait_loadcnt 0x6
	v_lshrrev_b32_e32 v42, 16, v48
	s_wait_loadcnt 0x5
	v_lshrrev_b32_e32 v43, 16, v49
	;; [unrolled: 2-line block ×7, first 2 shown]
	s_wait_dscnt 0xd
	v_mul_f16_e32 v70, v55, v42
	v_mul_f16_e32 v42, v23, v42
	s_wait_dscnt 0x9
	v_mul_f16_e32 v74, v59, v46
	s_wait_dscnt 0x8
	;; [unrolled: 2-line block ×3, first 2 shown]
	v_mul_f16_e32 v76, v61, v69
	v_mul_f16_e32 v69, v17, v69
	;; [unrolled: 1-line block ×10, first 2 shown]
	v_fma_f16 v17, v17, v54, -v76
	v_fmac_f16_e32 v69, v54, v61
	v_fma_f16 v18, v18, v53, -v75
	v_fmac_f16_e32 v47, v53, v60
	;; [unrolled: 2-line block ×7, first 2 shown]
	v_sub_f16_e32 v17, v0, v17
	s_wait_dscnt 0x0
	v_sub_f16_e32 v48, v68, v69
	v_sub_f16_e32 v18, v11, v18
	;; [unrolled: 1-line block ×13, first 2 shown]
	v_fma_f16 v0, v0, 2.0, -v17
	v_fma_f16 v55, v68, 2.0, -v48
	;; [unrolled: 1-line block ×14, first 2 shown]
	v_pack_b32_f16 v0, v0, v55
	v_pack_b32_f16 v17, v17, v48
	;; [unrolled: 1-line block ×14, first 2 shown]
	s_clause 0xd
	global_store_b32 v[3:4], v0, off
	global_store_b32 v[1:2], v17, off
	;; [unrolled: 1-line block ×14, first 2 shown]
.LBB0_26:
	s_nop 0
	s_sendmsg sendmsg(MSG_DEALLOC_VGPRS)
	s_endpgm
	.section	.rodata,"a",@progbits
	.p2align	6, 0x0
	.amdhsa_kernel fft_rtc_fwd_len546_factors_13_3_7_2_wgs_117_tpt_39_halfLds_half_ip_CI_sbrr_dirReg
		.amdhsa_group_segment_fixed_size 0
		.amdhsa_private_segment_fixed_size 0
		.amdhsa_kernarg_size 88
		.amdhsa_user_sgpr_count 2
		.amdhsa_user_sgpr_dispatch_ptr 0
		.amdhsa_user_sgpr_queue_ptr 0
		.amdhsa_user_sgpr_kernarg_segment_ptr 1
		.amdhsa_user_sgpr_dispatch_id 0
		.amdhsa_user_sgpr_private_segment_size 0
		.amdhsa_wavefront_size32 1
		.amdhsa_uses_dynamic_stack 0
		.amdhsa_enable_private_segment 0
		.amdhsa_system_sgpr_workgroup_id_x 1
		.amdhsa_system_sgpr_workgroup_id_y 0
		.amdhsa_system_sgpr_workgroup_id_z 0
		.amdhsa_system_sgpr_workgroup_info 0
		.amdhsa_system_vgpr_workitem_id 0
		.amdhsa_next_free_vgpr 120
		.amdhsa_next_free_sgpr 35
		.amdhsa_reserve_vcc 1
		.amdhsa_float_round_mode_32 0
		.amdhsa_float_round_mode_16_64 0
		.amdhsa_float_denorm_mode_32 3
		.amdhsa_float_denorm_mode_16_64 3
		.amdhsa_fp16_overflow 0
		.amdhsa_workgroup_processor_mode 1
		.amdhsa_memory_ordered 1
		.amdhsa_forward_progress 0
		.amdhsa_round_robin_scheduling 0
		.amdhsa_exception_fp_ieee_invalid_op 0
		.amdhsa_exception_fp_denorm_src 0
		.amdhsa_exception_fp_ieee_div_zero 0
		.amdhsa_exception_fp_ieee_overflow 0
		.amdhsa_exception_fp_ieee_underflow 0
		.amdhsa_exception_fp_ieee_inexact 0
		.amdhsa_exception_int_div_zero 0
	.end_amdhsa_kernel
	.text
.Lfunc_end0:
	.size	fft_rtc_fwd_len546_factors_13_3_7_2_wgs_117_tpt_39_halfLds_half_ip_CI_sbrr_dirReg, .Lfunc_end0-fft_rtc_fwd_len546_factors_13_3_7_2_wgs_117_tpt_39_halfLds_half_ip_CI_sbrr_dirReg
                                        ; -- End function
	.section	.AMDGPU.csdata,"",@progbits
; Kernel info:
; codeLenInByte = 14276
; NumSgprs: 37
; NumVgprs: 120
; ScratchSize: 0
; MemoryBound: 0
; FloatMode: 240
; IeeeMode: 1
; LDSByteSize: 0 bytes/workgroup (compile time only)
; SGPRBlocks: 4
; VGPRBlocks: 14
; NumSGPRsForWavesPerEU: 37
; NumVGPRsForWavesPerEU: 120
; Occupancy: 12
; WaveLimiterHint : 1
; COMPUTE_PGM_RSRC2:SCRATCH_EN: 0
; COMPUTE_PGM_RSRC2:USER_SGPR: 2
; COMPUTE_PGM_RSRC2:TRAP_HANDLER: 0
; COMPUTE_PGM_RSRC2:TGID_X_EN: 1
; COMPUTE_PGM_RSRC2:TGID_Y_EN: 0
; COMPUTE_PGM_RSRC2:TGID_Z_EN: 0
; COMPUTE_PGM_RSRC2:TIDIG_COMP_CNT: 0
	.text
	.p2alignl 7, 3214868480
	.fill 96, 4, 3214868480
	.type	__hip_cuid_2a32bfb331238f7,@object ; @__hip_cuid_2a32bfb331238f7
	.section	.bss,"aw",@nobits
	.globl	__hip_cuid_2a32bfb331238f7
__hip_cuid_2a32bfb331238f7:
	.byte	0                               ; 0x0
	.size	__hip_cuid_2a32bfb331238f7, 1

	.ident	"AMD clang version 19.0.0git (https://github.com/RadeonOpenCompute/llvm-project roc-6.4.0 25133 c7fe45cf4b819c5991fe208aaa96edf142730f1d)"
	.section	".note.GNU-stack","",@progbits
	.addrsig
	.addrsig_sym __hip_cuid_2a32bfb331238f7
	.amdgpu_metadata
---
amdhsa.kernels:
  - .args:
      - .actual_access:  read_only
        .address_space:  global
        .offset:         0
        .size:           8
        .value_kind:     global_buffer
      - .offset:         8
        .size:           8
        .value_kind:     by_value
      - .actual_access:  read_only
        .address_space:  global
        .offset:         16
        .size:           8
        .value_kind:     global_buffer
      - .actual_access:  read_only
        .address_space:  global
        .offset:         24
        .size:           8
        .value_kind:     global_buffer
      - .offset:         32
        .size:           8
        .value_kind:     by_value
      - .actual_access:  read_only
        .address_space:  global
        .offset:         40
        .size:           8
        .value_kind:     global_buffer
      - .actual_access:  read_only
        .address_space:  global
        .offset:         48
        .size:           8
        .value_kind:     global_buffer
      - .offset:         56
        .size:           4
        .value_kind:     by_value
      - .actual_access:  read_only
        .address_space:  global
        .offset:         64
        .size:           8
        .value_kind:     global_buffer
      - .actual_access:  read_only
        .address_space:  global
        .offset:         72
        .size:           8
        .value_kind:     global_buffer
      - .address_space:  global
        .offset:         80
        .size:           8
        .value_kind:     global_buffer
    .group_segment_fixed_size: 0
    .kernarg_segment_align: 8
    .kernarg_segment_size: 88
    .language:       OpenCL C
    .language_version:
      - 2
      - 0
    .max_flat_workgroup_size: 117
    .name:           fft_rtc_fwd_len546_factors_13_3_7_2_wgs_117_tpt_39_halfLds_half_ip_CI_sbrr_dirReg
    .private_segment_fixed_size: 0
    .sgpr_count:     37
    .sgpr_spill_count: 0
    .symbol:         fft_rtc_fwd_len546_factors_13_3_7_2_wgs_117_tpt_39_halfLds_half_ip_CI_sbrr_dirReg.kd
    .uniform_work_group_size: 1
    .uses_dynamic_stack: false
    .vgpr_count:     120
    .vgpr_spill_count: 0
    .wavefront_size: 32
    .workgroup_processor_mode: 1
amdhsa.target:   amdgcn-amd-amdhsa--gfx1201
amdhsa.version:
  - 1
  - 2
...

	.end_amdgpu_metadata
